;; amdgpu-corpus repo=ROCm/rocFFT kind=compiled arch=gfx1201 opt=O3
	.text
	.amdgcn_target "amdgcn-amd-amdhsa--gfx1201"
	.amdhsa_code_object_version 6
	.protected	bluestein_single_fwd_len3600_dim1_sp_op_CI_CI ; -- Begin function bluestein_single_fwd_len3600_dim1_sp_op_CI_CI
	.globl	bluestein_single_fwd_len3600_dim1_sp_op_CI_CI
	.p2align	8
	.type	bluestein_single_fwd_len3600_dim1_sp_op_CI_CI,@function
bluestein_single_fwd_len3600_dim1_sp_op_CI_CI: ; @bluestein_single_fwd_len3600_dim1_sp_op_CI_CI
; %bb.0:
	s_load_b128 s[16:19], s[0:1], 0x28
	v_mul_u32_u24_e32 v1, 0x223, v0
	s_mov_b32 s2, exec_lo
	v_mov_b32_e32 v3, 0
	s_delay_alu instid0(VALU_DEP_2) | instskip(NEXT) | instid1(VALU_DEP_1)
	v_lshrrev_b32_e32 v1, 16, v1
	v_add_nc_u32_e32 v2, ttmp9, v1
	s_wait_kmcnt 0x0
	s_delay_alu instid0(VALU_DEP_1)
	v_cmpx_gt_u64_e64 s[16:17], v[2:3]
	s_cbranch_execz .LBB0_2
; %bb.1:
	s_clause 0x1
	s_load_b128 s[4:7], s[0:1], 0x18
	s_load_b128 s[8:11], s[0:1], 0x0
	v_mul_lo_u16 v1, 0x78, v1
	v_mov_b32_e32 v4, v2
	s_load_b64 s[0:1], s[0:1], 0x38
	s_delay_alu instid0(VALU_DEP_2)
	v_sub_nc_u16 v84, v0, v1
	scratch_store_b64 off, v[4:5], off      ; 8-byte Folded Spill
	v_and_b32_e32 v138, 0xffff, v84
	s_wait_kmcnt 0x0
	s_load_b128 s[12:15], s[4:5], 0x0
	s_wait_kmcnt 0x0
	v_mad_co_u64_u32 v[0:1], null, s14, v2, 0
	v_mad_co_u64_u32 v[2:3], null, s12, v138, 0
	s_mul_u64 s[2:3], s[12:13], 0xb40
	s_mul_i32 s4, s13, 0xffff9e80
	s_delay_alu instid0(SALU_CYCLE_1) | instskip(NEXT) | instid1(VALU_DEP_1)
	s_sub_co_i32 s4, s4, s12
	v_mad_co_u64_u32 v[4:5], null, s15, v4, v[1:2]
	s_delay_alu instid0(VALU_DEP_1) | instskip(NEXT) | instid1(VALU_DEP_3)
	v_mov_b32_e32 v1, v4
	v_mad_co_u64_u32 v[5:6], null, s13, v138, v[3:4]
	s_delay_alu instid0(VALU_DEP_2) | instskip(NEXT) | instid1(VALU_DEP_2)
	v_lshlrev_b64_e32 v[0:1], 3, v[0:1]
	v_mov_b32_e32 v3, v5
	s_delay_alu instid0(VALU_DEP_2) | instskip(NEXT) | instid1(VALU_DEP_3)
	v_add_co_u32 v0, vcc_lo, s18, v0
	v_add_co_ci_u32_e32 v1, vcc_lo, s19, v1, vcc_lo
	s_delay_alu instid0(VALU_DEP_3) | instskip(NEXT) | instid1(VALU_DEP_1)
	v_lshlrev_b64_e32 v[2:3], 3, v[2:3]
	v_add_co_u32 v2, vcc_lo, v0, v2
	s_wait_alu 0xfffd
	s_delay_alu instid0(VALU_DEP_2) | instskip(NEXT) | instid1(VALU_DEP_2)
	v_add_co_ci_u32_e32 v3, vcc_lo, v1, v3, vcc_lo
	v_add_co_u32 v4, vcc_lo, v2, s2
	s_wait_alu 0xfffd
	s_delay_alu instid0(VALU_DEP_2)
	v_add_co_ci_u32_e32 v5, vcc_lo, s3, v3, vcc_lo
	s_clause 0x1
	global_load_b64 v[6:7], v[2:3], off
	global_load_b64 v[8:9], v[4:5], off
	v_lshlrev_b32_e32 v208, 3, v138
	v_add_co_u32 v2, vcc_lo, v4, s2
	s_wait_alu 0xfffd
	v_add_co_ci_u32_e32 v3, vcc_lo, s3, v5, vcc_lo
	s_clause 0x1
	global_load_b64 v[16:17], v208, s[8:9]
	global_load_b64 v[22:23], v208, s[8:9] offset:2880
	s_wait_loadcnt 0x1
	v_mul_f32_e32 v15, v6, v17
	global_load_b64 v[26:27], v208, s[8:9] offset:5760
	global_load_b64 v[4:5], v[2:3], off
	global_load_b64 v[20:21], v208, s[8:9] offset:8640
	v_add_co_u32 v2, vcc_lo, v2, s2
	s_wait_alu 0xfffd
	v_add_co_ci_u32_e32 v3, vcc_lo, s3, v3, vcc_lo
	v_mul_f32_e32 v14, v7, v17
	s_delay_alu instid0(VALU_DEP_3) | instskip(SKIP_1) | instid1(VALU_DEP_3)
	v_add_co_u32 v10, vcc_lo, v2, s2
	s_wait_alu 0xfffd
	v_add_co_ci_u32_e32 v11, vcc_lo, s3, v3, vcc_lo
	s_clause 0x1
	global_load_b64 v[24:25], v208, s[8:9] offset:11520
	global_load_b64 v[18:19], v208, s[8:9] offset:14400
	global_load_b64 v[12:13], v[2:3], off
	v_add_co_u32 v2, vcc_lo, v10, s2
	s_wait_alu 0xfffd
	v_add_co_ci_u32_e32 v3, vcc_lo, s3, v11, vcc_lo
	scratch_store_b64 off, v[16:17], off offset:236 ; 8-byte Folded Spill
	s_wait_loadcnt 0x6
	v_dual_mul_f32 v17, v8, v23 :: v_dual_fmac_f32 v14, v6, v16
	v_mul_f32_e32 v6, v9, v23
	v_fma_f32 v15, v7, v16, -v15
	v_add_co_u32 v16, vcc_lo, v2, s2
	scratch_store_b64 off, v[22:23], off offset:44 ; 8-byte Folded Spill
	v_fma_f32 v7, v9, v22, -v17
	s_wait_alu 0xfffd
	v_add_co_ci_u32_e32 v17, vcc_lo, s3, v3, vcc_lo
	global_load_b64 v[2:3], v[2:3], off
	v_fmac_f32_e32 v6, v8, v22
	global_load_b64 v[10:11], v[10:11], off
	v_add_nc_u32_e32 v132, 0x1800, v208
	v_add_nc_u32_e32 v30, 0x3400, v208
	;; [unrolled: 1-line block ×10, first 2 shown]
	v_mov_b32_e32 v187, v30
	s_wait_loadcnt 0x7
	s_delay_alu instid0(VALU_DEP_2)
	v_dual_mov_b32 v193, v201 :: v_dual_mov_b32 v22, v26
	v_mov_b32_e32 v23, v27
	global_load_b64 v[26:27], v208, s[8:9] offset:17280
	s_wait_loadcnt 0x6
	scratch_store_b64 off, v[20:21], off offset:36 ; 8-byte Folded Spill
	v_mul_f32_e32 v8, v5, v23
	v_mul_f32_e32 v9, v4, v23
	s_delay_alu instid0(VALU_DEP_2) | instskip(SKIP_1) | instid1(VALU_DEP_3)
	v_fmac_f32_e32 v8, v4, v22
	v_add_co_u32 v4, vcc_lo, v16, s2
	v_fma_f32 v9, v5, v22, -v9
	s_wait_alu 0xfffd
	v_add_co_ci_u32_e32 v5, vcc_lo, s3, v17, vcc_lo
	global_load_b64 v[16:17], v[16:17], off
	ds_store_b64 v208, v[6:7] offset:2880
	s_wait_loadcnt 0x4
	v_mul_f32_e32 v6, v12, v21
	s_delay_alu instid0(VALU_DEP_1) | instskip(SKIP_1) | instid1(VALU_DEP_1)
	v_fma_f32 v7, v13, v20, -v6
	v_mul_f32_e32 v6, v13, v21
	v_fmac_f32_e32 v6, v12, v20
	s_wait_loadcnt 0x2
	v_mul_f32_e32 v12, v10, v25
	ds_store_b64 v208, v[8:9] offset:5760
	v_mul_f32_e32 v8, v11, v25
	global_load_b64 v[20:21], v208, s[8:9] offset:20160
	v_fma_f32 v9, v11, v24, -v12
	global_load_b64 v[12:13], v208, s[8:9] offset:23040
	v_fmac_f32_e32 v8, v10, v24
	v_add_co_u32 v10, vcc_lo, v4, s2
	s_wait_alu 0xfffd
	v_add_co_ci_u32_e32 v11, vcc_lo, s3, v5, vcc_lo
	global_load_b64 v[4:5], v[4:5], off
	ds_store_b64 v208, v[6:7] offset:8640
	ds_store_b64 v208, v[8:9] offset:11520
	v_mul_f32_e32 v7, v2, v19
	v_mul_f32_e32 v6, v3, v19
	s_delay_alu instid0(VALU_DEP_2) | instskip(NEXT) | instid1(VALU_DEP_2)
	v_fma_f32 v7, v3, v18, -v7
	v_fmac_f32_e32 v6, v2, v18
	s_wait_loadcnt 0x4
	scratch_store_b64 off, v[26:27], off offset:172 ; 8-byte Folded Spill
	s_wait_loadcnt 0x3
	v_mul_f32_e32 v8, v16, v27
	v_mul_f32_e32 v2, v17, v27
	s_delay_alu instid0(VALU_DEP_2)
	v_fma_f32 v3, v17, v26, -v8
	v_add_co_u32 v8, vcc_lo, v10, s2
	s_wait_alu 0xfffd
	v_add_co_ci_u32_e32 v9, vcc_lo, s3, v11, vcc_lo
	global_load_b64 v[10:11], v[10:11], off
	v_fmac_f32_e32 v2, v16, v26
	ds_store_b64 v208, v[6:7] offset:14400
	s_wait_loadcnt 0x2
	v_dual_mov_b32 v17, v13 :: v_dual_mov_b32 v16, v12
	global_load_b64 v[12:13], v208, s[8:9] offset:25920
	s_wait_loadcnt 0x2
	v_mul_f32_e32 v6, v4, v21
	scratch_store_b64 off, v[16:17], off offset:164 ; 8-byte Folded Spill
	v_fma_f32 v6, v5, v20, -v6
	v_mul_f32_e32 v5, v5, v21
	scratch_store_b64 off, v[22:23], off offset:188 ; 8-byte Folded Spill
	v_fmac_f32_e32 v5, v4, v20
	ds_store_b64 v208, v[2:3] offset:17280
	s_wait_loadcnt 0x1
	v_mul_f32_e32 v4, v10, v17
	v_mul_f32_e32 v2, v11, v17
	s_delay_alu instid0(VALU_DEP_2) | instskip(NEXT) | instid1(VALU_DEP_2)
	v_fma_f32 v3, v11, v16, -v4
	v_fmac_f32_e32 v2, v10, v16
	global_load_b64 v[10:11], v[8:9], off
	v_mad_co_u64_u32 v[7:8], null, 0xffff9e80, s12, v[8:9]
	global_load_b64 v[16:17], v208, s[8:9] offset:960
	ds_store_b64 v208, v[5:6] offset:20160
	ds_store_b64 v208, v[2:3] offset:23040
	s_clause 0x2
	scratch_store_b64 off, v[24:25], off offset:180
	scratch_store_b64 off, v[18:19], off offset:28
	;; [unrolled: 1-line block ×3, first 2 shown]
	s_wait_loadcnt 0x2
	scratch_store_b64 off, v[12:13], off offset:12 ; 8-byte Folded Spill
	v_add_nc_u32_e32 v8, s4, v8
	s_wait_loadcnt 0x1
	v_mul_f32_e32 v4, v10, v13
	v_mul_f32_e32 v2, v11, v13
	s_wait_loadcnt 0x0
	scratch_store_b64 off, v[16:17], off offset:204 ; 8-byte Folded Spill
	v_fma_f32 v3, v11, v12, -v4
	v_add_co_u32 v4, vcc_lo, v7, s2
	global_load_b64 v[6:7], v[7:8], off
	v_fmac_f32_e32 v2, v10, v12
	s_wait_alu 0xfffd
	v_add_co_ci_u32_e32 v5, vcc_lo, s3, v8, vcc_lo
	ds_store_b64 v208, v[2:3] offset:25920
	s_wait_loadcnt 0x0
	v_mul_f32_e32 v2, v6, v17
	s_delay_alu instid0(VALU_DEP_1) | instskip(SKIP_1) | instid1(VALU_DEP_1)
	v_fma_f32 v3, v7, v16, -v2
	v_mul_f32_e32 v2, v7, v17
	v_fmac_f32_e32 v2, v6, v16
	v_add_co_u32 v6, vcc_lo, v4, s2
	s_wait_alu 0xfffd
	v_add_co_ci_u32_e32 v7, vcc_lo, s3, v5, vcc_lo
	ds_store_2addr_b64 v208, v[14:15], v[2:3] offset1:120
	global_load_b64 v[4:5], v[4:5], off
	global_load_b64 v[14:15], v208, s[8:9] offset:3840
	v_add_co_u32 v2, vcc_lo, v6, s2
	s_wait_alu 0xfffd
	v_add_co_ci_u32_e32 v3, vcc_lo, s3, v7, vcc_lo
	s_delay_alu instid0(VALU_DEP_2) | instskip(SKIP_1) | instid1(VALU_DEP_2)
	v_add_co_u32 v8, vcc_lo, v2, s2
	s_wait_alu 0xfffd
	v_add_co_ci_u32_e32 v9, vcc_lo, s3, v3, vcc_lo
	s_delay_alu instid0(VALU_DEP_1) | instskip(NEXT) | instid1(VALU_DEP_1)
	v_mad_co_u64_u32 v[10:11], null, 0x1680, s12, v[8:9]
	v_mad_co_u64_u32 v[11:12], null, 0x1680, s13, v[11:12]
	s_wait_loadcnt 0x0
	v_mul_f32_e32 v12, v4, v15
	scratch_store_b64 off, v[14:15], off offset:60 ; 8-byte Folded Spill
	v_fma_f32 v13, v5, v14, -v12
	v_mul_f32_e32 v12, v5, v15
	s_delay_alu instid0(VALU_DEP_1) | instskip(SKIP_3) | instid1(VALU_DEP_2)
	v_fmac_f32_e32 v12, v4, v14
	v_add_co_u32 v4, vcc_lo, v10, s2
	s_wait_alu 0xfffd
	v_add_co_ci_u32_e32 v5, vcc_lo, s3, v11, vcc_lo
	v_add_co_u32 v14, vcc_lo, v4, s2
	s_wait_alu 0xfffd
	s_delay_alu instid0(VALU_DEP_2) | instskip(NEXT) | instid1(VALU_DEP_2)
	v_add_co_ci_u32_e32 v15, vcc_lo, s3, v5, vcc_lo
	v_add_co_u32 v16, vcc_lo, v14, s2
	s_wait_alu 0xfffd
	s_delay_alu instid0(VALU_DEP_2) | instskip(NEXT) | instid1(VALU_DEP_1)
	v_add_co_ci_u32_e32 v17, vcc_lo, s3, v15, vcc_lo
	v_mad_co_u64_u32 v[18:19], null, 0xffff9e80, s12, v[16:17]
	s_delay_alu instid0(VALU_DEP_1) | instskip(NEXT) | instid1(VALU_DEP_2)
	v_add_nc_u32_e32 v19, s4, v19
	v_add_co_u32 v20, vcc_lo, v18, s2
	s_wait_alu 0xfffd
	s_delay_alu instid0(VALU_DEP_2)
	v_add_co_ci_u32_e32 v21, vcc_lo, s3, v19, vcc_lo
	global_load_b64 v[25:26], v208, s[8:9] offset:4800
	global_load_b64 v[22:23], v[20:21], off
	s_wait_loadcnt 0x1
	scratch_store_b64 off, v[25:26], off offset:140 ; 8-byte Folded Spill
	s_wait_loadcnt 0x0
	v_mul_f32_e32 v24, v22, v26
	s_delay_alu instid0(VALU_DEP_1) | instskip(SKIP_1) | instid1(VALU_DEP_1)
	v_fma_f32 v24, v23, v25, -v24
	v_mul_f32_e32 v23, v23, v26
	v_fmac_f32_e32 v23, v22, v25
	ds_store_2addr_b64 v255, v[12:13], v[23:24] offset0:96 offset1:216
	global_load_b64 v[6:7], v[6:7], off
	global_load_b64 v[22:23], v208, s[8:9] offset:6720
	v_add_co_u32 v12, vcc_lo, v20, s2
	s_wait_alu 0xfffd
	v_add_co_ci_u32_e32 v13, vcc_lo, s3, v21, vcc_lo
	global_load_b64 v[24:25], v208, s[8:9] offset:7680
	s_wait_loadcnt 0x1
	v_mul_f32_e32 v20, v6, v23
	scratch_store_b64 off, v[22:23], off offset:228 ; 8-byte Folded Spill
	s_wait_loadcnt 0x0
	scratch_store_b64 off, v[24:25], off offset:156 ; 8-byte Folded Spill
	v_fma_f32 v21, v7, v22, -v20
	v_mul_f32_e32 v20, v7, v23
	s_delay_alu instid0(VALU_DEP_1) | instskip(SKIP_3) | instid1(VALU_DEP_1)
	v_fmac_f32_e32 v20, v6, v22
	global_load_b64 v[6:7], v[12:13], off
	s_wait_loadcnt 0x0
	v_mul_f32_e32 v22, v6, v25
	v_fma_f32 v23, v7, v24, -v22
	v_mul_f32_e32 v22, v7, v25
	s_delay_alu instid0(VALU_DEP_1)
	v_fmac_f32_e32 v22, v6, v24
	v_add_co_u32 v6, vcc_lo, v12, s2
	s_wait_alu 0xfffd
	v_add_co_ci_u32_e32 v7, vcc_lo, s3, v13, vcc_lo
	ds_store_2addr_b64 v132, v[20:21], v[22:23] offset0:72 offset1:192
	global_load_b64 v[2:3], v[2:3], off
	s_clause 0x1
	global_load_b64 v[20:21], v208, s[8:9] offset:9600
	global_load_b64 v[22:23], v208, s[8:9] offset:10560
	s_wait_loadcnt 0x1
	v_mul_f32_e32 v12, v2, v21
	scratch_store_b64 off, v[20:21], off offset:92 ; 8-byte Folded Spill
	s_wait_loadcnt 0x0
	scratch_store_b64 off, v[22:23], off offset:100 ; 8-byte Folded Spill
	v_fma_f32 v13, v3, v20, -v12
	v_mul_f32_e32 v12, v3, v21
	s_delay_alu instid0(VALU_DEP_1) | instskip(SKIP_3) | instid1(VALU_DEP_1)
	v_fmac_f32_e32 v12, v2, v20
	global_load_b64 v[2:3], v[6:7], off
	s_wait_loadcnt 0x0
	v_mul_f32_e32 v20, v2, v23
	v_fma_f32 v21, v3, v22, -v20
	v_mul_f32_e32 v20, v3, v23
	s_delay_alu instid0(VALU_DEP_1)
	v_fmac_f32_e32 v20, v2, v22
	v_add_co_u32 v2, vcc_lo, v6, s2
	s_wait_alu 0xfffd
	v_add_co_ci_u32_e32 v3, vcc_lo, s3, v7, vcc_lo
	ds_store_2addr_b64 v217, v[12:13], v[20:21] offset0:48 offset1:168
	global_load_b64 v[6:7], v[8:9], off
	s_clause 0x1
	global_load_b64 v[12:13], v208, s[8:9] offset:12480
	global_load_b64 v[22:23], v208, s[8:9] offset:13440
	s_wait_loadcnt 0x1
	v_mul_f32_e32 v8, v6, v13
	scratch_store_b64 off, v[12:13], off offset:308 ; 8-byte Folded Spill
	v_fma_f32 v8, v7, v12, -v8
	v_mul_f32_e32 v7, v7, v13
	s_delay_alu instid0(VALU_DEP_1) | instskip(SKIP_4) | instid1(VALU_DEP_2)
	v_fmac_f32_e32 v7, v6, v12
	global_load_b64 v[12:13], v[2:3], off
	s_wait_loadcnt 0x0
	v_mul_f32_e32 v6, v12, v23
	v_mul_f32_e32 v20, v13, v23
	v_fma_f32 v21, v13, v22, -v6
	s_delay_alu instid0(VALU_DEP_2)
	v_fmac_f32_e32 v20, v12, v22
	ds_store_2addr_b64 v133, v[7:8], v[20:21] offset0:24 offset1:144
	v_or_b32_e32 v8, 0x780, v138
	s_clause 0x1
	scratch_store_b64 off, v[22:23], off offset:124
	scratch_store_b32 off, v8, off offset:8
	v_mad_co_u64_u32 v[6:7], null, s12, v8, 0
	s_delay_alu instid0(VALU_DEP_1) | instskip(NEXT) | instid1(VALU_DEP_1)
	v_mad_co_u64_u32 v[7:8], null, s13, v8, v[7:8]
	v_lshlrev_b64_e32 v[6:7], 3, v[6:7]
	s_delay_alu instid0(VALU_DEP_1) | instskip(SKIP_1) | instid1(VALU_DEP_2)
	v_add_co_u32 v0, vcc_lo, v0, v6
	s_wait_alu 0xfffd
	v_add_co_ci_u32_e32 v1, vcc_lo, v1, v7, vcc_lo
	global_load_b64 v[0:1], v[0:1], off
	global_load_b64 v[8:9], v208, s[8:9] offset:15360
	v_add_co_u32 v2, vcc_lo, v2, s2
	s_wait_alu 0xfffd
	v_add_co_ci_u32_e32 v3, vcc_lo, s3, v3, vcc_lo
	global_load_b64 v[12:13], v208, s[8:9] offset:16320
	s_wait_loadcnt 0x1
	v_mul_f32_e32 v6, v0, v9
	scratch_store_b64 off, v[8:9], off offset:148 ; 8-byte Folded Spill
	s_wait_loadcnt 0x0
	scratch_store_b64 off, v[12:13], off offset:132 ; 8-byte Folded Spill
	v_fma_f32 v7, v1, v8, -v6
	v_mul_f32_e32 v6, v1, v9
	s_delay_alu instid0(VALU_DEP_1) | instskip(SKIP_3) | instid1(VALU_DEP_1)
	v_fmac_f32_e32 v6, v0, v8
	global_load_b64 v[0:1], v[2:3], off
	s_wait_loadcnt 0x0
	v_mul_f32_e32 v8, v0, v13
	v_fma_f32 v9, v1, v12, -v8
	v_dual_mul_f32 v8, v1, v13 :: v_dual_add_nc_u32 v13, 0x2c00, v208
	s_delay_alu instid0(VALU_DEP_1)
	v_fmac_f32_e32 v8, v0, v12
	v_add_co_u32 v0, vcc_lo, v2, s2
	s_wait_alu 0xfffd
	v_add_co_ci_u32_e32 v1, vcc_lo, s3, v3, vcc_lo
	ds_store_2addr_b64 v209, v[6:7], v[8:9] offset0:128 offset1:248
	global_load_b64 v[2:3], v[10:11], off
	s_clause 0x1
	global_load_b64 v[8:9], v208, s[8:9] offset:18240
	global_load_b64 v[10:11], v208, s[8:9] offset:19200
	v_mov_b32_e32 v186, v13
	s_wait_loadcnt 0x1
	v_mul_f32_e32 v6, v2, v9
	scratch_store_b64 off, v[8:9], off offset:220 ; 8-byte Folded Spill
	s_wait_loadcnt 0x0
	scratch_store_b64 off, v[10:11], off offset:84 ; 8-byte Folded Spill
	v_fma_f32 v7, v3, v8, -v6
	v_mul_f32_e32 v6, v3, v9
	s_delay_alu instid0(VALU_DEP_1)
	v_fmac_f32_e32 v6, v2, v8
	global_load_b64 v[2:3], v[0:1], off
	v_add_co_u32 v0, vcc_lo, v0, s2
	s_wait_alu 0xfffd
	v_add_co_ci_u32_e32 v1, vcc_lo, s3, v1, vcc_lo
	s_wait_loadcnt 0x0
	v_mul_f32_e32 v8, v2, v11
	s_delay_alu instid0(VALU_DEP_1) | instskip(SKIP_1) | instid1(VALU_DEP_1)
	v_fma_f32 v9, v3, v10, -v8
	v_mul_f32_e32 v8, v3, v11
	v_fmac_f32_e32 v8, v2, v10
	ds_store_2addr_b64 v134, v[6:7], v[8:9] offset0:104 offset1:224
	global_load_b64 v[2:3], v[4:5], off
	s_clause 0x1
	global_load_b64 v[5:6], v208, s[8:9] offset:21120
	global_load_b64 v[8:9], v208, s[8:9] offset:22080
	s_wait_loadcnt 0x1
	v_mul_f32_e32 v4, v2, v6
	scratch_store_b64 off, v[5:6], off offset:108 ; 8-byte Folded Spill
	s_wait_loadcnt 0x0
	scratch_store_b64 off, v[8:9], off offset:116 ; 8-byte Folded Spill
	v_fma_f32 v4, v3, v5, -v4
	v_mul_f32_e32 v3, v3, v6
	s_delay_alu instid0(VALU_DEP_1)
	v_fmac_f32_e32 v3, v2, v5
	global_load_b64 v[5:6], v[0:1], off
	v_add_co_u32 v0, vcc_lo, v0, s2
	s_wait_alu 0xfffd
	v_add_co_ci_u32_e32 v1, vcc_lo, s3, v1, vcc_lo
	s_wait_loadcnt 0x0
	v_mul_f32_e32 v2, v5, v9
	s_delay_alu instid0(VALU_DEP_1) | instskip(SKIP_2) | instid1(VALU_DEP_2)
	v_fma_f32 v7, v6, v8, -v2
	v_mul_f32_e32 v6, v6, v9
	v_add_nc_u32_e32 v2, 0x5000, v208
	v_fmac_f32_e32 v6, v5, v8
	s_delay_alu instid0(VALU_DEP_2)
	v_mov_b32_e32 v182, v2
	ds_store_2addr_b64 v2, v[3:4], v[6:7] offset0:80 offset1:200
	global_load_b64 v[2:3], v[14:15], off
	s_clause 0x1
	global_load_b64 v[5:6], v208, s[8:9] offset:24000
	global_load_b64 v[8:9], v208, s[8:9] offset:24960
	v_add_nc_u32_e32 v14, 0x5800, v208
	s_delay_alu instid0(VALU_DEP_1)
	v_mov_b32_e32 v194, v14
	s_wait_loadcnt 0x1
	v_mul_f32_e32 v4, v2, v6
	scratch_store_b64 off, v[5:6], off offset:212 ; 8-byte Folded Spill
	s_wait_loadcnt 0x0
	scratch_store_b64 off, v[8:9], off offset:52 ; 8-byte Folded Spill
	v_fma_f32 v4, v3, v5, -v4
	v_mul_f32_e32 v3, v3, v6
	s_delay_alu instid0(VALU_DEP_1)
	v_fmac_f32_e32 v3, v2, v5
	global_load_b64 v[5:6], v[0:1], off
	v_add_co_u32 v0, vcc_lo, v0, s2
	s_wait_alu 0xfffd
	v_add_co_ci_u32_e32 v1, vcc_lo, s3, v1, vcc_lo
	v_cmp_gt_u16_e32 vcc_lo, 0x64, v84
	s_wait_loadcnt 0x0
	v_mul_f32_e32 v2, v5, v9
	s_delay_alu instid0(VALU_DEP_1) | instskip(SKIP_1) | instid1(VALU_DEP_1)
	v_fma_f32 v7, v6, v8, -v2
	v_mul_f32_e32 v6, v6, v9
	v_fmac_f32_e32 v6, v5, v8
	v_add_nc_u32_e32 v8, 0x1400, v208
	ds_store_2addr_b64 v135, v[3:4], v[6:7] offset0:56 offset1:176
	global_load_b64 v[2:3], v[16:17], off
	global_load_b64 v[5:6], v208, s[8:9] offset:26880
	s_wait_loadcnt 0x0
	v_dual_mov_b32 v185, v8 :: v_dual_mul_f32 v4, v2, v6
	scratch_store_b64 off, v[5:6], off offset:68 ; 8-byte Folded Spill
	v_fma_f32 v4, v3, v5, -v4
	v_mul_f32_e32 v3, v3, v6
	s_delay_alu instid0(VALU_DEP_1)
	v_fmac_f32_e32 v3, v2, v5
	global_load_b64 v[0:1], v[0:1], off
	global_load_b64 v[5:6], v208, s[8:9] offset:27840
	s_wait_loadcnt 0x0
	v_mul_f32_e32 v2, v0, v6
	scratch_store_b64 off, v[5:6], off offset:76 ; 8-byte Folded Spill
	v_fma_f32 v2, v1, v5, -v2
	v_mul_f32_e32 v1, v1, v6
	s_delay_alu instid0(VALU_DEP_1)
	v_dual_fmac_f32 v1, v0, v5 :: v_dual_add_nc_u32 v0, 0x6800, v208
	ds_store_2addr_b64 v0, v[3:4], v[1:2] offset0:32 offset1:152
	v_mov_b32_e32 v180, v0
	global_load_b64 v[0:1], v[18:19], off
	global_load_b64 v[3:4], v208, s[8:9] offset:1920
	s_load_b128 s[4:7], s[6:7], 0x0
	s_wait_loadcnt 0x0
	v_mul_f32_e32 v2, v0, v4
	scratch_store_b64 off, v[3:4], off offset:196 ; 8-byte Folded Spill
	v_fma_f32 v2, v1, v3, -v2
	v_mul_f32_e32 v1, v1, v4
	s_delay_alu instid0(VALU_DEP_1)
	v_fmac_f32_e32 v1, v0, v3
	ds_store_b64 v208, v[1:2] offset:1920
	global_wb scope:SCOPE_SE
	s_wait_storecnt_dscnt 0x0
	s_wait_kmcnt 0x0
	s_barrier_signal -1
	s_barrier_wait -1
	global_inv scope:SCOPE_SE
	ds_load_2addr_b64 v[0:3], v208 offset1:120
	ds_load_2addr_b64 v[4:7], v8 offset0:80 offset1:200
	ds_load_2addr_b64 v[8:11], v13 offset0:32 offset1:152
	;; [unrolled: 1-line block ×4, first 2 shown]
	s_wait_dscnt 0x3
	v_add_f32_e32 v12, v0, v4
	s_wait_dscnt 0x2
	v_sub_f32_e32 v75, v4, v8
	v_dual_sub_f32 v35, v8, v4 :: v_dual_sub_f32 v76, v5, v9
	v_sub_f32_e32 v36, v9, v5
	v_add_f32_e32 v24, v12, v8
	v_add_f32_e32 v12, v1, v5
	v_sub_f32_e32 v22, v6, v10
	v_dual_sub_f32 v16, v10, v6 :: v_dual_sub_f32 v23, v7, v11
	s_delay_alu instid0(VALU_DEP_3) | instskip(SKIP_1) | instid1(VALU_DEP_1)
	v_dual_sub_f32 v17, v11, v7 :: v_dual_add_f32 v26, v12, v9
	v_add_f32_e32 v12, v2, v6
	v_add_f32_e32 v28, v12, v10
	;; [unrolled: 1-line block ×3, first 2 shown]
	s_delay_alu instid0(VALU_DEP_1)
	v_dual_add_f32 v29, v12, v11 :: v_dual_add_nc_u32 v12, 0x4000, v208
	ds_load_2addr_b64 v[40:43], v12 offset0:112 offset1:232
	v_mov_b32_e32 v203, v12
	s_wait_dscnt 0x0
	v_dual_add_f32 v70, v8, v40 :: v_dual_sub_f32 v25, v9, v41
	v_add_f32_e32 v73, v9, v41
	v_sub_f32_e32 v27, v8, v40
	v_dual_add_f32 v19, v10, v42 :: v_dual_sub_f32 v12, v11, v43
	v_add_f32_e32 v21, v11, v43
	v_sub_f32_e32 v13, v10, v42
	ds_load_2addr_b64 v[8:11], v14 offset0:64 offset1:184
	v_fma_f32 v73, -0.5, v73, v1
	v_fma_f32 v19, -0.5, v19, v2
	;; [unrolled: 1-line block ×3, first 2 shown]
	s_wait_dscnt 0x0
	v_sub_f32_e32 v31, v5, v9
	v_add_f32_e32 v39, v4, v8
	v_sub_f32_e32 v32, v4, v8
	v_sub_f32_e32 v90, v8, v40
	v_dual_add_f32 v4, v24, v40 :: v_dual_add_f32 v37, v5, v9
	v_sub_f32_e32 v14, v7, v11
	v_add_f32_e32 v18, v6, v10
	v_dual_sub_f32 v15, v6, v10 :: v_dual_add_f32 v20, v7, v11
	v_dual_add_f32 v5, v26, v41 :: v_dual_add_f32 v6, v28, v42
	v_dual_add_f32 v7, v29, v43 :: v_dual_sub_f32 v44, v40, v8
	v_sub_f32_e32 v33, v10, v42
	v_sub_f32_e32 v28, v42, v10
	v_dual_add_f32 v75, v75, v90 :: v_dual_add_f32 v42, v4, v8
	v_dual_sub_f32 v91, v9, v41 :: v_dual_add_nc_u32 v8, 0x400, v208
	v_sub_f32_e32 v48, v41, v9
	v_sub_f32_e32 v34, v11, v43
	;; [unrolled: 1-line block ×3, first 2 shown]
	v_dual_add_f32 v43, v5, v9 :: v_dual_add_f32 v24, v6, v10
	v_add_f32_e32 v26, v7, v11
	ds_load_2addr_b64 v[4:7], v8 offset0:112 offset1:232
	v_mov_b32_e32 v216, v8
	ds_load_2addr_b64 v[8:11], v38 offset0:64 offset1:184
	v_fma_f32 v1, -0.5, v37, v1
	v_mov_b32_e32 v192, v38
	s_wait_dscnt 0x0
	v_dual_add_f32 v46, v6, v10 :: v_dual_sub_f32 v49, v11, v80
	v_sub_f32_e32 v107, v10, v66
	v_add_f32_e32 v56, v10, v79
	v_sub_f32_e32 v59, v66, v10
	v_add_f32_e32 v47, v7, v11
	v_sub_f32_e32 v51, v10, v79
	v_sub_f32_e32 v108, v11, v67
	v_add_f32_e32 v55, v11, v80
	v_dual_sub_f32 v61, v67, v11 :: v_dual_add_f32 v10, v4, v8
	v_add_f32_e32 v11, v5, v9
	v_dual_add_f32 v53, v46, v66 :: v_dual_add_nc_u32 v46, 0x4800, v208
	v_dual_sub_f32 v30, v9, v78 :: v_dual_sub_f32 v45, v8, v64
	v_add_f32_e32 v38, v8, v77
	v_sub_f32_e32 v41, v64, v8
	v_sub_f32_e32 v40, v8, v77
	v_add_f32_e32 v50, v9, v78
	v_sub_f32_e32 v60, v9, v65
	v_dual_sub_f32 v52, v65, v9 :: v_dual_add_f32 v57, v10, v64
	v_add_f32_e32 v58, v11, v65
	ds_load_2addr_b64 v[8:11], v46 offset0:96 offset1:216
	v_mov_b32_e32 v202, v46
	s_wait_dscnt 0x0
	v_sub_f32_e32 v112, v66, v10
	v_dual_add_f32 v54, v47, v67 :: v_dual_add_f32 v109, v66, v10
	v_sub_f32_e32 v110, v67, v11
	v_dual_add_f32 v111, v67, v11 :: v_dual_add_f32 v62, v64, v8
	v_sub_f32_e32 v46, v65, v9
	v_add_f32_e32 v63, v65, v9
	v_sub_f32_e32 v47, v64, v8
	v_dual_add_f32 v53, v53, v10 :: v_dual_add_f32 v54, v54, v11
	v_dual_add_f32 v64, v57, v8 :: v_dual_add_f32 v67, v58, v9
	v_dual_sub_f32 v113, v79, v10 :: v_dual_sub_f32 v114, v10, v79
	v_dual_sub_f32 v115, v80, v11 :: v_dual_sub_f32 v116, v11, v80
	;; [unrolled: 1-line block ×4, first 2 shown]
	ds_load_2addr_b64 v[8:11], v255 offset0:96 offset1:216
	ds_load_2addr_b64 v[95:98], v217 offset0:48 offset1:168
	;; [unrolled: 1-line block ×3, first 2 shown]
	v_dual_add_f32 v117, v53, v79 :: v_dual_add_f32 v118, v54, v80
	v_add_f32_e32 v53, v64, v77
	v_add_f32_e32 v90, v107, v113
	s_wait_dscnt 0x0
	v_dual_add_f32 v72, v9, v96 :: v_dual_sub_f32 v119, v95, v103
	ds_load_2addr_b64 v[99:102], v180 offset0:32 offset1:152
	v_add_f32_e32 v71, v8, v95
	v_sub_f32_e32 v94, v103, v95
	v_sub_f32_e32 v120, v96, v104
	;; [unrolled: 1-line block ×4, first 2 shown]
	v_dual_sub_f32 v69, v105, v97 :: v_dual_add_f32 v82, v11, v98
	v_sub_f32_e32 v83, v98, v106
	v_sub_f32_e32 v79, v106, v98
	v_add_f32_e32 v89, v72, v104
	v_add_f32_e32 v76, v76, v91
	;; [unrolled: 1-line block ×5, first 2 shown]
	s_delay_alu instid0(VALU_DEP_2)
	v_add_f32_e32 v78, v78, v105
	s_wait_dscnt 0x0
	v_dual_sub_f32 v80, v96, v100 :: v_dual_add_f32 v87, v95, v99
	v_sub_f32_e32 v81, v95, v99
	v_add_f32_e32 v85, v96, v100
	v_dual_add_f32 v67, v97, v101 :: v_dual_sub_f32 v64, v98, v102
	v_dual_add_f32 v77, v98, v102 :: v_dual_sub_f32 v68, v97, v101
	ds_load_2addr_b64 v[95:98], v182 offset0:80 offset1:200
	v_add_f32_e32 v88, v71, v103
	global_wb scope:SCOPE_SE
	s_wait_dscnt 0x0
	s_barrier_signal -1
	s_barrier_wait -1
	global_inv scope:SCOPE_SE
	v_sub_f32_e32 v71, v105, v97
	v_dual_add_f32 v92, v105, v97 :: v_dual_add_f32 v105, v88, v95
	v_dual_add_f32 v78, v78, v97 :: v_dual_add_f32 v121, v103, v95
	v_dual_sub_f32 v103, v103, v95 :: v_dual_sub_f32 v72, v106, v98
	v_dual_add_f32 v93, v106, v98 :: v_dual_add_f32 v106, v89, v96
	v_sub_f32_e32 v123, v99, v95
	v_dual_sub_f32 v124, v95, v99 :: v_dual_sub_f32 v127, v101, v97
	v_sub_f32_e32 v89, v97, v101
	v_add_f32_e32 v99, v105, v99
	v_fma_f32 v70, -0.5, v70, v0
	v_fma_f32 v2, -0.5, v18, v2
	v_add_f32_e32 v78, v78, v101
	v_fma_f32 v101, -0.5, v109, v6
	v_fma_f32 v0, -0.5, v39, v0
	v_dual_fmamk_f32 v107, v31, 0x3f737871, v70 :: v_dual_add_f32 v82, v82, v98
	s_delay_alu instid0(VALU_DEP_3) | instskip(NEXT) | instid1(VALU_DEP_3)
	v_dual_sub_f32 v122, v104, v96 :: v_dual_fmamk_f32 v95, v49, 0x3f737871, v101
	v_fmamk_f32 v39, v25, 0xbf737871, v0
	s_delay_alu instid0(VALU_DEP_3)
	v_fmac_f32_e32 v107, 0x3f167918, v25
	v_fmac_f32_e32 v0, 0x3f737871, v25
	;; [unrolled: 1-line block ×4, first 2 shown]
	v_dual_sub_f32 v128, v102, v98 :: v_dual_fmac_f32 v3, -0.5, v20
	v_dual_add_f32 v82, v82, v102 :: v_dual_fmac_f32 v107, 0x3e9e377a, v75
	v_sub_f32_e32 v88, v98, v102
	v_fma_f32 v102, -0.5, v111, v7
	v_fmac_f32_e32 v95, 0x3e9e377a, v90
	v_add_f32_e32 v35, v35, v44
	v_fmac_f32_e32 v39, 0x3f167918, v31
	v_fmac_f32_e32 v0, 0xbf167918, v31
	v_fma_f32 v7, -0.5, v55, v7
	v_add_f32_e32 v44, v59, v114
	s_delay_alu instid0(VALU_DEP_4) | instskip(NEXT) | instid1(VALU_DEP_4)
	v_dual_add_f32 v104, v104, v96 :: v_dual_fmac_f32 v39, 0x3e9e377a, v35
	v_fmac_f32_e32 v0, 0x3e9e377a, v35
	v_fmamk_f32 v35, v27, 0x3f737871, v1
	v_fmac_f32_e32 v1, 0xbf737871, v27
	v_fmamk_f32 v37, v112, 0x3f737871, v7
	v_fma_f32 v6, -0.5, v56, v6
	v_fmac_f32_e32 v7, 0xbf737871, v112
	v_fmac_f32_e32 v35, 0xbf167918, v32
	v_add_f32_e32 v91, v108, v115
	v_add_f32_e32 v36, v36, v48
	;; [unrolled: 1-line block ×3, first 2 shown]
	v_fmac_f32_e32 v1, 0x3f167918, v32
	v_fmac_f32_e32 v37, 0xbf167918, v51
	v_sub_f32_e32 v125, v100, v96
	v_fmac_f32_e32 v35, 0x3e9e377a, v36
	v_sub_f32_e32 v126, v96, v100
	v_fmac_f32_e32 v1, 0x3e9e377a, v36
	v_fmac_f32_e32 v37, 0x3e9e377a, v48
	v_fmamk_f32 v36, v110, 0xbf737871, v6
	v_fmac_f32_e32 v6, 0x3f737871, v110
	v_add_f32_e32 v100, v106, v100
	v_fmamk_f32 v96, v51, 0xbf737871, v102
	v_mul_f32_e32 v105, 0x3f4f1bbd, v95
	v_fmac_f32_e32 v36, 0x3f167918, v49
	v_fmac_f32_e32 v6, 0xbf167918, v49
	v_mul_f32_e32 v106, 0xbf167918, v95
	v_fmamk_f32 v108, v32, 0xbf737871, v73
	v_mul_lo_u16 v95, v84, 10
	v_fmac_f32_e32 v36, 0x3e9e377a, v44
	v_fmac_f32_e32 v6, 0x3e9e377a, v44
	;; [unrolled: 1-line block ×3, first 2 shown]
	v_dual_mul_f32 v44, 0x3f737871, v37 :: v_dual_fmac_f32 v73, 0x3f737871, v32
	v_and_b32_e32 v95, 0xffff, v95
	v_fmac_f32_e32 v102, 0x3f737871, v51
	s_delay_alu instid0(VALU_DEP_4)
	v_fmac_f32_e32 v7, 0x3e9e377a, v48
	v_fmac_f32_e32 v96, 0xbf167918, v112
	v_fmac_f32_e32 v44, 0x3e9e377a, v36
	v_mul_f32_e32 v36, 0xbf737871, v36
	v_fmac_f32_e32 v73, 0x3f167918, v27
	v_lshlrev_b32_e32 v219, 3, v95
	v_dual_fmac_f32 v96, 0x3e9e377a, v91 :: v_dual_add_f32 v95, v42, v117
	v_fmac_f32_e32 v108, 0xbf167918, v27
	v_fmac_f32_e32 v36, 0x3e9e377a, v37
	v_mul_f32_e32 v37, 0xbe9e377a, v6
	v_fmac_f32_e32 v101, 0xbf167918, v110
	v_fmac_f32_e32 v73, 0x3e9e377a, v76
	v_fmamk_f32 v18, v13, 0x3f737871, v3
	v_fmac_f32_e32 v3, 0xbf737871, v13
	v_fmac_f32_e32 v102, 0x3f167918, v112
	;; [unrolled: 1-line block ×4, first 2 shown]
	s_delay_alu instid0(VALU_DEP_4)
	v_dual_add_f32 v96, v43, v118 :: v_dual_fmac_f32 v3, 0x3f167918, v15
	v_fmac_f32_e32 v108, 0x3e9e377a, v76
	v_fmac_f32_e32 v37, 0x3f737871, v7
	v_mul_f32_e32 v7, 0xbe9e377a, v7
	v_fmac_f32_e32 v70, 0xbf737871, v31
	v_dual_fmac_f32 v101, 0x3e9e377a, v90 :: v_dual_fmac_f32 v102, 0x3e9e377a, v91
	v_dual_add_f32 v97, v107, v105 :: v_dual_add_f32 v98, v108, v106
	s_delay_alu instid0(VALU_DEP_4) | instskip(NEXT) | instid1(VALU_DEP_4)
	v_fmac_f32_e32 v7, 0xbf737871, v6
	v_fmac_f32_e32 v70, 0xbf167918, v25
	s_delay_alu instid0(VALU_DEP_4)
	v_dual_mul_f32 v6, 0xbf4f1bbd, v101 :: v_dual_mul_f32 v25, 0xbf4f1bbd, v102
	ds_store_b128 v219, v[95:98]
	v_add_f32_e32 v95, v39, v44
	v_dual_add_f32 v97, v0, v37 :: v_dual_add_f32 v96, v35, v36
	v_add_f32_e32 v98, v1, v7
	v_fmac_f32_e32 v70, 0x3e9e377a, v75
	v_fmac_f32_e32 v6, 0x3f167918, v102
	;; [unrolled: 1-line block ×3, first 2 shown]
	v_add_f32_e32 v31, v24, v99
	ds_store_b128 v219, v[95:98] offset:16
	v_dual_sub_f32 v97, v42, v117 :: v_dual_sub_f32 v98, v43, v118
	v_dual_add_f32 v95, v70, v6 :: v_dual_add_f32 v96, v73, v25
	v_fmac_f32_e32 v18, 0xbf167918, v15
	v_add_co_u32 v48, null, 0xf0, v138
	ds_store_b128 v219, v[95:98] offset:32
	v_sub_f32_e32 v95, v107, v105
	v_dual_sub_f32 v97, v39, v44 :: v_dual_sub_f32 v96, v108, v106
	v_sub_f32_e32 v98, v35, v36
	v_add_co_u32 v44, null, 0x78, v138
	v_fmamk_f32 v39, v15, 0xbf737871, v21
	v_fmac_f32_e32 v21, 0x3f737871, v15
	ds_store_b128 v219, v[95:98] offset:48
	v_sub_f32_e32 v95, v0, v37
	v_sub_f32_e32 v98, v73, v25
	v_fma_f32 v25, -0.5, v121, v8
	v_fmamk_f32 v37, v14, 0x3f737871, v19
	v_fma_f32 v27, -0.5, v104, v9
	v_dual_sub_f32 v97, v70, v6 :: v_dual_sub_f32 v96, v1, v7
	s_delay_alu instid0(VALU_DEP_4) | instskip(NEXT) | instid1(VALU_DEP_3)
	v_fmamk_f32 v6, v80, 0x3f737871, v25
	v_dual_add_f32 v0, v22, v33 :: v_dual_fmamk_f32 v7, v81, 0xbf737871, v27
	v_add_f32_e32 v22, v119, v123
	v_add_f32_e32 v1, v23, v34
	;; [unrolled: 1-line block ×3, first 2 shown]
	v_fmac_f32_e32 v37, 0x3f167918, v12
	v_fmac_f32_e32 v7, 0xbf167918, v103
	;; [unrolled: 1-line block ×3, first 2 shown]
	v_fma_f32 v9, -0.5, v85, v9
	v_fmac_f32_e32 v25, 0xbf737871, v80
	v_fmac_f32_e32 v37, 0x3e9e377a, v0
	s_delay_alu instid0(VALU_DEP_4)
	v_dual_fmac_f32 v7, 0x3e9e377a, v23 :: v_dual_fmac_f32 v6, 0x3e9e377a, v22
	v_fmac_f32_e32 v27, 0x3f737871, v81
	v_fmac_f32_e32 v39, 0xbf167918, v13
	;; [unrolled: 1-line block ×4, first 2 shown]
	v_mul_f32_e32 v35, 0x3f4f1bbd, v6
	v_mul_f32_e32 v36, 0xbf167918, v6
	v_mul_u32_u24_e32 v6, 10, v44
	v_fmac_f32_e32 v25, 0xbf167918, v122
	v_fmac_f32_e32 v27, 0x3f167918, v103
	;; [unrolled: 1-line block ×3, first 2 shown]
	v_dual_fmac_f32 v36, 0x3f4f1bbd, v7 :: v_dual_add_f32 v7, v17, v29
	v_fmamk_f32 v17, v12, 0xbf737871, v2
	v_dual_fmac_f32 v2, 0x3f737871, v12 :: v_dual_lshlrev_b32 v221, 3, v6
	v_add_f32_e32 v6, v16, v28
	s_delay_alu instid0(VALU_DEP_4) | instskip(NEXT) | instid1(VALU_DEP_4)
	v_fmac_f32_e32 v18, 0x3e9e377a, v7
	v_fmac_f32_e32 v17, 0x3f167918, v14
	s_delay_alu instid0(VALU_DEP_4) | instskip(SKIP_2) | instid1(VALU_DEP_4)
	v_fmac_f32_e32 v2, 0xbf167918, v14
	v_dual_fmac_f32 v3, 0x3e9e377a, v7 :: v_dual_add_f32 v16, v94, v124
	v_add_f32_e32 v33, v37, v35
	v_fmac_f32_e32 v17, 0x3e9e377a, v6
	s_delay_alu instid0(VALU_DEP_4)
	v_fmac_f32_e32 v2, 0x3e9e377a, v6
	v_fma_f32 v6, -0.5, v87, v8
	v_add_f32_e32 v8, v86, v126
	v_fmac_f32_e32 v25, 0x3e9e377a, v22
	v_fmac_f32_e32 v27, 0x3e9e377a, v23
	;; [unrolled: 1-line block ×3, first 2 shown]
	v_fmamk_f32 v7, v122, 0xbf737871, v6
	v_fmac_f32_e32 v6, 0x3f737871, v122
	v_fmac_f32_e32 v19, 0xbf167918, v12
	v_dual_mul_f32 v12, 0xbf4f1bbd, v25 :: v_dual_mul_f32 v13, 0xbf4f1bbd, v27
	s_delay_alu instid0(VALU_DEP_4) | instskip(NEXT) | instid1(VALU_DEP_4)
	v_fmac_f32_e32 v7, 0x3f167918, v80
	v_fmac_f32_e32 v6, 0xbf167918, v80
	v_add_f32_e32 v32, v26, v100
	v_add_f32_e32 v34, v39, v36
	v_fmac_f32_e32 v19, 0x3e9e377a, v0
	v_fmac_f32_e32 v7, 0x3e9e377a, v16
	;; [unrolled: 1-line block ×3, first 2 shown]
	v_fmamk_f32 v16, v103, 0x3f737871, v9
	v_fmac_f32_e32 v9, 0xbf737871, v103
	v_fmac_f32_e32 v21, 0x3e9e377a, v1
	v_mul_f32_e32 v28, 0xbf737871, v7
	v_fmac_f32_e32 v12, 0x3f167918, v27
	v_fmac_f32_e32 v16, 0xbf167918, v81
	;; [unrolled: 1-line block ×4, first 2 shown]
	ds_store_b128 v219, v[95:98] offset:64
	v_fmac_f32_e32 v16, 0x3e9e377a, v8
	v_fmac_f32_e32 v9, 0x3e9e377a, v8
	s_delay_alu instid0(VALU_DEP_2) | instskip(SKIP_1) | instid1(VALU_DEP_3)
	v_mul_f32_e32 v20, 0x3f737871, v16
	v_fmac_f32_e32 v28, 0x3e9e377a, v16
	v_dual_mul_f32 v16, 0xbe9e377a, v6 :: v_dual_mul_f32 v29, 0xbe9e377a, v9
	s_delay_alu instid0(VALU_DEP_2) | instskip(NEXT) | instid1(VALU_DEP_2)
	v_dual_fmac_f32 v20, 0x3e9e377a, v7 :: v_dual_add_f32 v7, v18, v28
	v_fmac_f32_e32 v16, 0x3f737871, v9
	s_delay_alu instid0(VALU_DEP_2) | instskip(NEXT) | instid1(VALU_DEP_1)
	v_dual_fmac_f32 v29, 0xbf737871, v6 :: v_dual_add_f32 v6, v17, v20
	v_dual_add_f32 v8, v2, v16 :: v_dual_add_f32 v9, v3, v29
	ds_store_b128 v221, v[31:34]
	v_sub_f32_e32 v0, v2, v16
	v_fma_f32 v16, -0.5, v62, v4
	v_fma_f32 v4, -0.5, v38, v4
	ds_store_b128 v221, v[6:9] offset:16
	v_dual_sub_f32 v8, v24, v99 :: v_dual_sub_f32 v9, v26, v100
	v_dual_add_f32 v6, v19, v12 :: v_dual_add_f32 v7, v21, v13
	v_sub_f32_e32 v1, v3, v29
	v_dual_sub_f32 v2, v19, v12 :: v_dual_sub_f32 v3, v21, v13
	v_fmamk_f32 v22, v46, 0xbf737871, v4
	ds_store_b128 v221, v[6:9] offset:32
	v_sub_f32_e32 v8, v17, v20
	v_fma_f32 v17, -0.5, v63, v5
	v_fmac_f32_e32 v5, -0.5, v50
	v_fmac_f32_e32 v4, 0x3f737871, v46
	v_add_f32_e32 v21, v41, v58
	v_fmac_f32_e32 v22, 0x3f167918, v30
	v_fma_f32 v12, -0.5, v92, v10
	v_fmamk_f32 v23, v47, 0x3f737871, v5
	v_fmac_f32_e32 v4, 0xbf167918, v30
	v_fmac_f32_e32 v5, 0xbf737871, v47
	v_dual_fmac_f32 v22, 0x3e9e377a, v21 :: v_dual_sub_f32 v7, v39, v36
	ds_store_b128 v221, v[0:3] offset:64
	v_fmac_f32_e32 v4, 0x3e9e377a, v21
	v_add_f32_e32 v21, v52, v57
	v_fmac_f32_e32 v5, 0x3f167918, v40
	v_fma_f32 v13, -0.5, v93, v11
	v_sub_f32_e32 v6, v37, v35
	v_fmamk_f32 v0, v64, 0x3f737871, v12
	v_fmamk_f32 v19, v40, 0xbf737871, v17
	v_fmac_f32_e32 v5, 0x3e9e377a, v21
	v_sub_f32_e32 v9, v18, v28
	v_fmamk_f32 v1, v68, 0xbf737871, v13
	v_fmac_f32_e32 v0, 0x3f167918, v72
	v_dual_fmac_f32 v13, 0x3f737871, v68 :: v_dual_fmamk_f32 v18, v30, 0x3f737871, v16
	ds_store_b128 v221, v[6:9] offset:48
	v_dual_add_f32 v8, v74, v127 :: v_dual_add_f32 v9, v83, v128
	v_dual_fmac_f32 v1, 0xbf167918, v71 :: v_dual_add_f32 v6, v45, v65
	v_and_b32_e32 v45, 0xff, v44
	s_delay_alu instid0(VALU_DEP_3) | instskip(NEXT) | instid1(VALU_DEP_3)
	v_dual_fmac_f32 v0, 0x3e9e377a, v8 :: v_dual_add_f32 v7, v60, v66
	v_fmac_f32_e32 v1, 0x3e9e377a, v9
	v_fmac_f32_e32 v18, 0x3f167918, v46
	;; [unrolled: 1-line block ×3, first 2 shown]
	s_delay_alu instid0(VALU_DEP_4) | instskip(SKIP_2) | instid1(VALU_DEP_4)
	v_mul_f32_e32 v14, 0x3f4f1bbd, v0
	v_mul_f32_e32 v15, 0xbf167918, v0
	v_mul_u32_u24_e32 v20, 10, v48
	v_dual_fmac_f32 v18, 0x3e9e377a, v6 :: v_dual_fmac_f32 v19, 0x3e9e377a, v7
	s_delay_alu instid0(VALU_DEP_4) | instskip(NEXT) | instid1(VALU_DEP_4)
	v_fmac_f32_e32 v14, 0x3f167918, v1
	v_dual_fmac_f32 v15, 0x3f4f1bbd, v1 :: v_dual_add_f32 v0, v53, v78
	s_delay_alu instid0(VALU_DEP_4) | instskip(NEXT) | instid1(VALU_DEP_2)
	v_dual_add_f32 v1, v54, v82 :: v_dual_lshlrev_b32 v248, 3, v20
	v_dual_add_f32 v2, v18, v14 :: v_dual_add_f32 v3, v19, v15
	v_dual_fmac_f32 v11, -0.5, v77 :: v_dual_fmac_f32 v12, 0xbf737871, v64
	v_fmac_f32_e32 v23, 0xbf167918, v40
	v_fmac_f32_e32 v16, 0xbf737871, v30
	ds_store_b128 v248, v[0:3]
	v_fma_f32 v2, -0.5, v67, v10
	v_add_f32_e32 v0, v69, v89
	v_fmamk_f32 v10, v71, 0x3f737871, v11
	v_fmac_f32_e32 v11, 0xbf737871, v71
	v_add_f32_e32 v1, v79, v88
	v_fmamk_f32 v3, v72, 0xbf737871, v2
	v_fmac_f32_e32 v2, 0x3f737871, v72
	v_fmac_f32_e32 v10, 0xbf167918, v68
	;; [unrolled: 1-line block ×13, first 2 shown]
	v_mul_f32_e32 v21, 0x3f737871, v10
	v_mul_f32_e32 v24, 0xbf737871, v3
	;; [unrolled: 1-line block ×3, first 2 shown]
	v_fmac_f32_e32 v16, 0xbf167918, v46
	v_fmac_f32_e32 v17, 0x3f167918, v47
	v_dual_fmac_f32 v12, 0x3e9e377a, v8 :: v_dual_fmac_f32 v13, 0x3e9e377a, v9
	s_delay_alu instid0(VALU_DEP_4) | instskip(SKIP_3) | instid1(VALU_DEP_3)
	v_fmac_f32_e32 v20, 0x3f737871, v11
	v_mul_f32_e32 v11, 0xbe9e377a, v11
	v_dual_fmac_f32 v21, 0x3e9e377a, v3 :: v_dual_fmac_f32 v24, 0x3e9e377a, v10
	v_dual_fmac_f32 v16, 0x3e9e377a, v6 :: v_dual_fmac_f32 v17, 0x3e9e377a, v7
	v_fmac_f32_e32 v11, 0xbf737871, v2
	v_dual_mul_f32 v6, 0xbf4f1bbd, v12 :: v_dual_mul_f32 v7, 0xbf4f1bbd, v13
	s_delay_alu instid0(VALU_DEP_4) | instskip(SKIP_2) | instid1(VALU_DEP_4)
	v_add_f32_e32 v0, v22, v21
	v_add_f32_e32 v2, v4, v20
	;; [unrolled: 1-line block ×3, first 2 shown]
	v_dual_add_f32 v3, v5, v11 :: v_dual_fmac_f32 v6, 0x3f167918, v13
	v_fmac_f32_e32 v7, 0xbf167918, v12
	v_mov_b32_e32 v13, v138
	ds_store_b128 v248, v[0:3] offset:16
	v_sub_f32_e32 v2, v53, v78
	v_sub_f32_e32 v3, v54, v82
	v_dual_add_f32 v0, v16, v6 :: v_dual_add_f32 v1, v17, v7
	ds_store_b128 v248, v[0:3] offset:32
	v_sub_f32_e32 v0, v18, v14
	v_dual_sub_f32 v2, v22, v21 :: v_dual_sub_f32 v1, v19, v15
	v_dual_sub_f32 v3, v23, v24 :: v_dual_mov_b32 v18, v180
	ds_store_b128 v248, v[0:3] offset:48
	v_dual_sub_f32 v1, v5, v11 :: v_dual_sub_f32 v0, v4, v20
	v_dual_sub_f32 v2, v16, v6 :: v_dual_sub_f32 v3, v17, v7
	ds_store_b128 v248, v[0:3] offset:64
	v_and_b32_e32 v0, 0xff, v84
	global_wb scope:SCOPE_SE
	s_wait_dscnt 0x0
	s_barrier_signal -1
	s_barrier_wait -1
	global_inv scope:SCOPE_SE
	v_mul_lo_u16 v0, 0xcd, v0
	v_mul_lo_u16 v1, 0xcd, v45
	s_delay_alu instid0(VALU_DEP_2) | instskip(NEXT) | instid1(VALU_DEP_2)
	v_lshrrev_b16 v90, 11, v0
	v_lshrrev_b16 v46, 11, v1
	s_delay_alu instid0(VALU_DEP_2) | instskip(NEXT) | instid1(VALU_DEP_1)
	v_mul_lo_u16 v0, v90, 10
	v_sub_nc_u16 v0, v84, v0
	s_delay_alu instid0(VALU_DEP_1) | instskip(NEXT) | instid1(VALU_DEP_4)
	v_and_b32_e32 v86, 0xff, v0
	v_mul_lo_u16 v0, v46, 10
	s_delay_alu instid0(VALU_DEP_2) | instskip(NEXT) | instid1(VALU_DEP_2)
	v_mad_co_u64_u32 v[4:5], null, 0x48, v86, s[10:11]
	v_sub_nc_u16 v0, v44, v0
	s_delay_alu instid0(VALU_DEP_1)
	v_and_b32_e32 v47, 0xff, v0
	s_clause 0x1
	global_load_b128 v[249:252], v[4:5], off
	global_load_b128 v[231:234], v[4:5], off offset:16
	ds_load_2addr_b64 v[0:3], v185 offset0:80 offset1:200
	s_clause 0x2
	global_load_b128 v[20:23], v[4:5], off offset:32
	global_load_b128 v[32:35], v[4:5], off offset:48
	global_load_b64 v[245:246], v[4:5], off offset:64
	s_wait_loadcnt_dscnt 0x400
	v_mul_f32_e32 v6, v1, v252
	v_mul_f32_e32 v96, v0, v252
	s_delay_alu instid0(VALU_DEP_2) | instskip(SKIP_1) | instid1(VALU_DEP_3)
	v_fma_f32 v97, v0, v251, -v6
	v_mad_co_u64_u32 v[6:7], null, 0x48, v47, s[10:11]
	v_fmac_f32_e32 v96, v1, v251
	s_clause 0x3
	global_load_b128 v[212:215], v[6:7], off
	global_load_b128 v[188:191], v[6:7], off offset:16
	global_load_b128 v[28:31], v[6:7], off offset:32
	;; [unrolled: 1-line block ×3, first 2 shown]
	s_wait_loadcnt 0x3
	v_mul_f32_e32 v0, v3, v215
	v_mul_f32_e32 v74, v2, v215
	s_delay_alu instid0(VALU_DEP_2) | instskip(NEXT) | instid1(VALU_DEP_2)
	v_fma_f32 v76, v2, v214, -v0
	v_fmac_f32_e32 v74, v3, v214
	ds_load_2addr_b64 v[0:3], v186 offset0:32 offset1:152
	s_wait_dscnt 0x0
	v_mul_f32_e32 v8, v1, v234
	s_wait_loadcnt 0x2
	v_dual_mul_f32 v100, v0, v234 :: v_dual_mul_f32 v79, v2, v191
	s_delay_alu instid0(VALU_DEP_2) | instskip(SKIP_1) | instid1(VALU_DEP_3)
	v_fma_f32 v101, v0, v233, -v8
	v_mul_f32_e32 v0, v3, v191
	v_dual_fmac_f32 v100, v1, v233 :: v_dual_fmac_f32 v79, v3, v190
	s_delay_alu instid0(VALU_DEP_2)
	v_fma_f32 v82, v2, v190, -v0
	ds_load_2addr_b64 v[0:3], v203 offset0:112 offset1:232
	s_wait_dscnt 0x0
	v_mul_f32_e32 v8, v1, v23
	v_mul_f32_e32 v102, v0, v23
	s_wait_loadcnt 0x1
	v_mul_f32_e32 v83, v2, v31
	s_delay_alu instid0(VALU_DEP_3) | instskip(SKIP_2) | instid1(VALU_DEP_3)
	v_fma_f32 v103, v0, v22, -v8
	v_mul_f32_e32 v0, v3, v31
	v_fmac_f32_e32 v102, v1, v22
	v_dual_fmac_f32 v83, v3, v30 :: v_dual_sub_f32 v130, v101, v103
	s_delay_alu instid0(VALU_DEP_3)
	v_fma_f32 v85, v2, v30, -v0
	ds_load_2addr_b64 v[0:3], v194 offset0:64 offset1:184
	v_add_f32_e32 v5, v101, v103
	s_wait_dscnt 0x0
	v_mul_f32_e32 v8, v1, v35
	v_mul_f32_e32 v104, v0, v35
	s_wait_loadcnt 0x0
	v_mul_f32_e32 v87, v2, v39
	s_delay_alu instid0(VALU_DEP_3) | instskip(SKIP_2) | instid1(VALU_DEP_3)
	v_fma_f32 v105, v0, v34, -v8
	v_mul_f32_e32 v0, v3, v39
	v_fmac_f32_e32 v104, v1, v34
	v_dual_fmac_f32 v87, v3, v38 :: v_dual_sub_f32 v128, v97, v105
	s_delay_alu instid0(VALU_DEP_3) | instskip(SKIP_1) | instid1(VALU_DEP_1)
	v_fma_f32 v88, v2, v38, -v0
	v_and_b32_e32 v0, 0xffff, v48
	v_mul_u32_u24_e32 v0, 0xcccd, v0
	s_delay_alu instid0(VALU_DEP_1) | instskip(NEXT) | instid1(VALU_DEP_1)
	v_lshrrev_b32_e32 v60, 19, v0
	v_mul_lo_u16 v0, v60, 10
	s_delay_alu instid0(VALU_DEP_1) | instskip(NEXT) | instid1(VALU_DEP_1)
	v_sub_nc_u16 v61, v48, v0
	v_mul_lo_u16 v0, 0x48, v61
	s_delay_alu instid0(VALU_DEP_1) | instskip(NEXT) | instid1(VALU_DEP_1)
	v_and_b32_e32 v0, 0xffff, v0
	v_add_co_u32 v8, s2, s10, v0
	s_wait_alu 0xf1ff
	v_add_co_ci_u32_e64 v9, null, s11, 0, s2
	ds_load_2addr_b64 v[0:3], v255 offset0:96 offset1:216
	s_clause 0x3
	global_load_b128 v[24:27], v[8:9], off
	global_load_b128 v[40:43], v[8:9], off offset:16
	global_load_b128 v[52:55], v[8:9], off offset:32
	;; [unrolled: 1-line block ×3, first 2 shown]
	s_wait_dscnt 0x0
	v_mul_f32_e32 v10, v1, v213
	v_mul_f32_e32 v81, v0, v213
	s_delay_alu instid0(VALU_DEP_2) | instskip(SKIP_1) | instid1(VALU_DEP_2)
	v_fma_f32 v80, v0, v212, -v10
	s_wait_loadcnt 0x3
	v_dual_fmac_f32 v81, v1, v212 :: v_dual_mul_f32 v0, v3, v25
	v_mul_f32_e32 v50, v2, v25
	s_delay_alu instid0(VALU_DEP_2) | instskip(NEXT) | instid1(VALU_DEP_2)
	v_fma_f32 v49, v2, v24, -v0
	v_fmac_f32_e32 v50, v3, v24
	ds_load_2addr_b64 v[0:3], v192 offset0:64 offset1:184
	s_wait_dscnt 0x0
	v_mul_f32_e32 v10, v3, v232
	v_mul_f32_e32 v106, v2, v232
	;; [unrolled: 1-line block ×3, first 2 shown]
	s_delay_alu instid0(VALU_DEP_3) | instskip(SKIP_1) | instid1(VALU_DEP_4)
	v_fma_f32 v107, v2, v231, -v10
	v_mul_f32_e32 v2, v1, v27
	v_fmac_f32_e32 v106, v3, v231
	s_delay_alu instid0(VALU_DEP_4) | instskip(NEXT) | instid1(VALU_DEP_3)
	v_fmac_f32_e32 v56, v1, v26
	v_fma_f32 v58, v0, v26, -v2
	ds_load_2addr_b64 v[0:3], v217 offset0:48 offset1:168
	s_wait_dscnt 0x0
	v_mul_f32_e32 v10, v1, v189
	v_mul_f32_e32 v89, v0, v189
	s_wait_loadcnt 0x2
	v_mul_f32_e32 v51, v2, v41
	s_delay_alu instid0(VALU_DEP_3) | instskip(NEXT) | instid1(VALU_DEP_3)
	v_fma_f32 v91, v0, v188, -v10
	v_dual_mul_f32 v0, v3, v41 :: v_dual_fmac_f32 v89, v1, v188
	s_delay_alu instid0(VALU_DEP_3) | instskip(NEXT) | instid1(VALU_DEP_2)
	v_fmac_f32_e32 v51, v3, v40
	v_fma_f32 v57, v2, v40, -v0
	ds_load_2addr_b64 v[0:3], v187 offset0:16 offset1:136
	s_wait_dscnt 0x0
	v_mul_f32_e32 v10, v3, v21
	v_dual_mul_f32 v108, v2, v21 :: v_dual_mul_f32 v63, v0, v43
	s_delay_alu instid0(VALU_DEP_2) | instskip(SKIP_1) | instid1(VALU_DEP_3)
	v_fma_f32 v109, v2, v20, -v10
	v_mul_f32_e32 v2, v1, v43
	v_dual_fmac_f32 v108, v3, v20 :: v_dual_fmac_f32 v63, v1, v42
	s_delay_alu instid0(VALU_DEP_2)
	v_fma_f32 v64, v0, v42, -v2
	ds_load_2addr_b64 v[0:3], v209 offset0:128 offset1:248
	s_wait_dscnt 0x0
	v_mul_f32_e32 v10, v1, v29
	v_mul_f32_e32 v92, v0, v29
	s_wait_loadcnt 0x1
	v_mul_f32_e32 v59, v2, v53
	s_delay_alu instid0(VALU_DEP_3) | instskip(SKIP_2) | instid1(VALU_DEP_4)
	v_fma_f32 v93, v0, v28, -v10
	v_mul_f32_e32 v0, v3, v53
	v_fmac_f32_e32 v92, v1, v28
	v_fmac_f32_e32 v59, v3, v52
	s_delay_alu instid0(VALU_DEP_3) | instskip(SKIP_4) | instid1(VALU_DEP_2)
	v_fma_f32 v62, v2, v52, -v0
	ds_load_2addr_b64 v[0:3], v202 offset0:96 offset1:216
	s_wait_dscnt 0x0
	v_mul_f32_e32 v10, v3, v33
	v_dual_mul_f32 v110, v2, v33 :: v_dual_mul_f32 v67, v0, v55
	v_fma_f32 v111, v2, v32, -v10
	v_mul_f32_e32 v2, v1, v55
	s_delay_alu instid0(VALU_DEP_3) | instskip(NEXT) | instid1(VALU_DEP_3)
	v_dual_fmac_f32 v110, v3, v32 :: v_dual_fmac_f32 v67, v1, v54
	v_sub_f32_e32 v118, v109, v111
	s_delay_alu instid0(VALU_DEP_3)
	v_fma_f32 v72, v0, v54, -v2
	ds_load_2addr_b64 v[0:3], v182 offset0:80 offset1:200
	v_sub_f32_e32 v120, v108, v110
	s_wait_dscnt 0x0
	v_mul_f32_e32 v10, v1, v37
	v_mul_f32_e32 v94, v0, v37
	s_wait_loadcnt 0x0
	v_mul_f32_e32 v65, v2, v69
	s_delay_alu instid0(VALU_DEP_3) | instskip(NEXT) | instid1(VALU_DEP_3)
	v_fma_f32 v95, v0, v36, -v10
	v_fmac_f32_e32 v94, v1, v36
	v_mul_f32_e32 v0, v3, v69
	s_delay_alu instid0(VALU_DEP_4) | instskip(NEXT) | instid1(VALU_DEP_2)
	v_fmac_f32_e32 v65, v3, v68
	v_fma_f32 v66, v2, v68, -v0
	ds_load_2addr_b64 v[0:3], v201 offset0:48 offset1:168
	s_clause 0x1
	global_load_b64 v[253:254], v[6:7], off offset:64
	global_load_b64 v[243:244], v[8:9], off offset:64
	ds_load_2addr_b64 v[8:11], v216 offset0:112 offset1:232
	v_add_f32_e32 v7, v100, v102
	s_wait_dscnt 0x1
	v_mul_f32_e32 v4, v3, v246
	v_dual_mul_f32 v112, v2, v246 :: v_dual_mul_f32 v75, v0, v71
	s_wait_dscnt 0x0
	v_mul_f32_e32 v122, v10, v250
	s_delay_alu instid0(VALU_DEP_3) | instskip(SKIP_2) | instid1(VALU_DEP_4)
	v_fma_f32 v113, v2, v245, -v4
	v_mul_f32_e32 v2, v1, v71
	v_dual_fmac_f32 v112, v3, v245 :: v_dual_fmac_f32 v75, v1, v70
	v_fmac_f32_e32 v122, v11, v249
	s_delay_alu instid0(VALU_DEP_4) | instskip(NEXT) | instid1(VALU_DEP_4)
	v_sub_f32_e32 v119, v107, v113
	v_fma_f32 v77, v0, v70, -v2
	ds_load_2addr_b64 v[0:3], v180 offset0:32 offset1:152
	v_sub_f32_e32 v123, v106, v112
	v_add_f32_e32 v6, v122, v106
	s_wait_loadcnt_dscnt 0x100
	v_mul_f32_e32 v4, v1, v254
	v_mul_f32_e32 v98, v0, v254
	s_wait_loadcnt 0x0
	v_mul_f32_e32 v78, v2, v244
	s_delay_alu instid0(VALU_DEP_3) | instskip(SKIP_4) | instid1(VALU_DEP_4)
	v_fma_f32 v99, v0, v253, -v4
	v_mul_f32_e32 v0, v3, v244
	v_fmac_f32_e32 v98, v1, v253
	v_sub_f32_e32 v1, v105, v103
	v_fmac_f32_e32 v78, v3, v243
	v_fma_f32 v73, v2, v243, -v0
	v_sub_f32_e32 v0, v97, v101
	s_delay_alu instid0(VALU_DEP_1) | instskip(SKIP_2) | instid1(VALU_DEP_1)
	v_add_f32_e32 v114, v0, v1
	v_sub_f32_e32 v0, v96, v100
	v_sub_f32_e32 v1, v104, v102
	v_add_f32_e32 v115, v0, v1
	v_dual_sub_f32 v0, v107, v109 :: v_dual_sub_f32 v1, v113, v111
	s_delay_alu instid0(VALU_DEP_1) | instskip(SKIP_1) | instid1(VALU_DEP_1)
	v_add_f32_e32 v116, v0, v1
	v_dual_sub_f32 v0, v106, v108 :: v_dual_sub_f32 v1, v112, v110
	v_dual_add_f32 v117, v0, v1 :: v_dual_mul_f32 v0, v11, v250
	s_delay_alu instid0(VALU_DEP_1) | instskip(SKIP_1) | instid1(VALU_DEP_1)
	v_fma_f32 v121, v10, v249, -v0
	v_add_f32_e32 v0, v109, v111
	v_fma_f32 v10, -0.5, v0, v121
	s_delay_alu instid0(VALU_DEP_1) | instskip(NEXT) | instid1(VALU_DEP_1)
	v_dual_add_f32 v0, v108, v110 :: v_dual_fmamk_f32 v1, v123, 0x3f737871, v10
	v_fma_f32 v11, -0.5, v0, v122
	v_fmac_f32_e32 v10, 0xbf737871, v123
	s_delay_alu instid0(VALU_DEP_3) | instskip(NEXT) | instid1(VALU_DEP_3)
	v_fmac_f32_e32 v1, 0x3f167918, v120
	v_fmamk_f32 v0, v119, 0xbf737871, v11
	v_fmac_f32_e32 v11, 0x3f737871, v119
	s_delay_alu instid0(VALU_DEP_3) | instskip(NEXT) | instid1(VALU_DEP_3)
	v_fmac_f32_e32 v1, 0x3e9e377a, v116
	v_fmac_f32_e32 v0, 0xbf167918, v118
	s_delay_alu instid0(VALU_DEP_3) | instskip(NEXT) | instid1(VALU_DEP_3)
	v_fmac_f32_e32 v11, 0x3f167918, v118
	v_mul_f32_e32 v125, 0xbf167918, v1
	s_delay_alu instid0(VALU_DEP_3) | instskip(NEXT) | instid1(VALU_DEP_3)
	v_fmac_f32_e32 v0, 0x3e9e377a, v117
	v_fmac_f32_e32 v11, 0x3e9e377a, v117
	s_delay_alu instid0(VALU_DEP_2) | instskip(NEXT) | instid1(VALU_DEP_4)
	v_mul_f32_e32 v124, 0x3f167918, v0
	v_fmac_f32_e32 v125, 0x3f4f1bbd, v0
	v_and_b32_e32 v0, 0xffff, v90
	v_sub_f32_e32 v90, v100, v102
	s_delay_alu instid0(VALU_DEP_4) | instskip(NEXT) | instid1(VALU_DEP_3)
	v_fmac_f32_e32 v124, 0x3f4f1bbd, v1
	v_mul_u32_u24_e32 v0, 0x64, v0
	s_delay_alu instid0(VALU_DEP_1)
	v_add_lshl_u32 v247, v0, v86, 3
	ds_load_2addr_b64 v[0:3], v208 offset1:120
	global_wb scope:SCOPE_SE
	s_wait_dscnt 0x0
	s_barrier_signal -1
	s_barrier_wait -1
	global_inv scope:SCOPE_SE
	scratch_store_b32 off, v13, off offset:244 ; 4-byte Folded Spill
	v_add_f32_e32 v4, v0, v97
	v_fma_f32 v127, -0.5, v7, v1
	v_fma_f32 v12, -0.5, v5, v0
	s_delay_alu instid0(VALU_DEP_3) | instskip(NEXT) | instid1(VALU_DEP_3)
	v_dual_add_f32 v5, v121, v107 :: v_dual_add_f32 v4, v4, v101
	v_fmamk_f32 v129, v128, 0xbf737871, v127
	v_fmac_f32_e32 v127, 0x3f737871, v128
	s_delay_alu instid0(VALU_DEP_3) | instskip(NEXT) | instid1(VALU_DEP_3)
	v_dual_add_f32 v5, v5, v109 :: v_dual_add_f32 v4, v4, v103
	v_fmac_f32_e32 v129, 0xbf167918, v130
	s_delay_alu instid0(VALU_DEP_3) | instskip(NEXT) | instid1(VALU_DEP_3)
	v_fmac_f32_e32 v127, 0x3f167918, v130
	v_dual_add_f32 v5, v5, v111 :: v_dual_add_f32 v126, v4, v105
	s_delay_alu instid0(VALU_DEP_2) | instskip(SKIP_1) | instid1(VALU_DEP_3)
	v_dual_add_f32 v4, v1, v96 :: v_dual_fmac_f32 v127, 0x3e9e377a, v115
	v_add_f32_e32 v6, v6, v108
	v_dual_add_f32 v136, v5, v113 :: v_dual_fmac_f32 v129, 0x3e9e377a, v115
	s_delay_alu instid0(VALU_DEP_3) | instskip(NEXT) | instid1(VALU_DEP_2)
	v_add_f32_e32 v4, v4, v100
	v_dual_add_f32 v6, v6, v110 :: v_dual_add_f32 v7, v129, v125
	s_delay_alu instid0(VALU_DEP_1) | instskip(NEXT) | instid1(VALU_DEP_1)
	v_dual_add_f32 v4, v4, v102 :: v_dual_add_f32 v137, v6, v112
	v_add_f32_e32 v131, v4, v104
	v_sub_f32_e32 v15, v96, v104
	s_delay_alu instid0(VALU_DEP_2) | instskip(NEXT) | instid1(VALU_DEP_2)
	v_dual_add_f32 v4, v126, v136 :: v_dual_add_f32 v5, v131, v137
	v_fmamk_f32 v86, v15, 0x3f737871, v12
	v_fmac_f32_e32 v12, 0xbf737871, v15
	s_delay_alu instid0(VALU_DEP_2) | instskip(NEXT) | instid1(VALU_DEP_2)
	v_fmac_f32_e32 v86, 0x3f167918, v90
	v_fmac_f32_e32 v12, 0xbf167918, v90
	s_delay_alu instid0(VALU_DEP_2) | instskip(NEXT) | instid1(VALU_DEP_1)
	v_fmac_f32_e32 v86, 0x3e9e377a, v114
	v_add_f32_e32 v6, v86, v124
	ds_store_2addr_b64 v247, v[4:5], v[6:7] offset1:10
	v_sub_f32_e32 v4, v101, v97
	v_sub_f32_e32 v5, v103, v105
	v_dual_add_f32 v6, v97, v105 :: v_dual_add_f32 v7, v96, v104
	s_delay_alu instid0(VALU_DEP_2) | instskip(SKIP_1) | instid1(VALU_DEP_3)
	v_add_f32_e32 v4, v4, v5
	v_sub_f32_e32 v5, v100, v96
	v_fma_f32 v6, -0.5, v6, v0
	s_delay_alu instid0(VALU_DEP_4) | instskip(SKIP_2) | instid1(VALU_DEP_4)
	v_fma_f32 v7, -0.5, v7, v1
	v_add_f32_e32 v1, v106, v112
	v_sub_f32_e32 v96, v102, v104
	v_fmamk_f32 v97, v90, 0xbf737871, v6
	v_fmac_f32_e32 v6, 0x3f737871, v90
	v_fmamk_f32 v100, v130, 0x3f737871, v7
	s_delay_alu instid0(VALU_DEP_4) | instskip(NEXT) | instid1(VALU_DEP_4)
	v_dual_add_f32 v0, v5, v96 :: v_dual_add_f32 v5, v107, v113
	v_fmac_f32_e32 v97, 0x3f167918, v15
	s_delay_alu instid0(VALU_DEP_4) | instskip(SKIP_1) | instid1(VALU_DEP_4)
	v_fmac_f32_e32 v6, 0xbf167918, v15
	v_dual_fmac_f32 v7, 0xbf737871, v130 :: v_dual_sub_f32 v96, v111, v113
	v_fmac_f32_e32 v121, -0.5, v5
	s_delay_alu instid0(VALU_DEP_4) | instskip(NEXT) | instid1(VALU_DEP_4)
	v_fmac_f32_e32 v97, 0x3e9e377a, v4
	v_fmac_f32_e32 v6, 0x3e9e377a, v4
	v_sub_f32_e32 v4, v109, v107
	v_fmac_f32_e32 v100, 0xbf167918, v128
	v_fmac_f32_e32 v7, 0x3f167918, v128
	v_fmamk_f32 v5, v120, 0xbf737871, v121
	v_dual_fmac_f32 v121, 0x3f737871, v120 :: v_dual_sub_f32 v90, v93, v95
	s_delay_alu instid0(VALU_DEP_4) | instskip(NEXT) | instid1(VALU_DEP_4)
	v_fmac_f32_e32 v100, 0x3e9e377a, v0
	v_fmac_f32_e32 v7, 0x3e9e377a, v0
	s_delay_alu instid0(VALU_DEP_3) | instskip(SKIP_2) | instid1(VALU_DEP_3)
	v_dual_add_f32 v0, v4, v96 :: v_dual_fmac_f32 v121, 0xbf167918, v123
	v_fmac_f32_e32 v122, -0.5, v1
	v_dual_sub_f32 v4, v110, v112 :: v_dual_fmac_f32 v5, 0x3f167918, v123
	v_fmac_f32_e32 v121, 0x3e9e377a, v0
	v_sub_f32_e32 v1, v108, v106
	v_sub_f32_e32 v106, v76, v88
	s_delay_alu instid0(VALU_DEP_4) | instskip(NEXT) | instid1(VALU_DEP_4)
	v_dual_fmac_f32 v5, 0x3e9e377a, v0 :: v_dual_sub_f32 v108, v82, v85
	v_mul_f32_e32 v102, 0xbe9e377a, v121
	s_delay_alu instid0(VALU_DEP_4) | instskip(NEXT) | instid1(VALU_DEP_3)
	v_dual_add_f32 v0, v1, v4 :: v_dual_fmamk_f32 v1, v118, 0x3f737871, v122
	v_dual_fmac_f32 v122, 0xbf737871, v118 :: v_dual_mul_f32 v101, 0xbf737871, v5
	s_delay_alu instid0(VALU_DEP_2) | instskip(NEXT) | instid1(VALU_DEP_2)
	v_fmac_f32_e32 v1, 0xbf167918, v119
	v_fmac_f32_e32 v122, 0x3f167918, v119
	s_delay_alu instid0(VALU_DEP_2) | instskip(NEXT) | instid1(VALU_DEP_2)
	v_fmac_f32_e32 v1, 0x3e9e377a, v0
	v_fmac_f32_e32 v122, 0x3e9e377a, v0
	s_delay_alu instid0(VALU_DEP_2) | instskip(NEXT) | instid1(VALU_DEP_2)
	v_mul_f32_e32 v96, 0x3f737871, v1
	v_mul_f32_e32 v103, 0xbe9e377a, v122
	v_fmac_f32_e32 v101, 0x3e9e377a, v1
	v_fmac_f32_e32 v102, 0x3f737871, v122
	s_delay_alu instid0(VALU_DEP_4) | instskip(NEXT) | instid1(VALU_DEP_4)
	v_fmac_f32_e32 v96, 0x3e9e377a, v5
	v_fmac_f32_e32 v103, 0xbf737871, v121
	s_delay_alu instid0(VALU_DEP_3) | instskip(NEXT) | instid1(VALU_DEP_2)
	v_dual_add_f32 v1, v100, v101 :: v_dual_add_f32 v4, v6, v102
	v_dual_add_f32 v0, v97, v96 :: v_dual_add_f32 v5, v7, v103
	ds_store_2addr_b64 v247, v[0:1], v[4:5] offset0:20 offset1:30
	v_dual_sub_f32 v1, v131, v137 :: v_dual_fmac_f32 v10, 0xbf167918, v120
	v_fmac_f32_e32 v12, 0x3e9e377a, v114
	v_sub_f32_e32 v0, v126, v136
	s_delay_alu instid0(VALU_DEP_3) | instskip(NEXT) | instid1(VALU_DEP_1)
	v_fmac_f32_e32 v10, 0x3e9e377a, v116
	v_mul_f32_e32 v15, 0xbf4f1bbd, v10
	s_delay_alu instid0(VALU_DEP_1) | instskip(SKIP_1) | instid1(VALU_DEP_1)
	v_fmac_f32_e32 v15, 0x3f167918, v11
	v_mul_f32_e32 v11, 0xbf4f1bbd, v11
	v_dual_add_f32 v4, v12, v15 :: v_dual_fmac_f32 v11, 0xbf167918, v10
	s_delay_alu instid0(VALU_DEP_1)
	v_add_f32_e32 v5, v127, v11
	ds_store_2addr_b64 v247, v[4:5], v[0:1] offset0:40 offset1:50
	v_dual_sub_f32 v0, v86, v124 :: v_dual_sub_f32 v1, v129, v125
	v_dual_sub_f32 v4, v97, v96 :: v_dual_sub_f32 v5, v100, v101
	v_sub_f32_e32 v96, v89, v98
	v_sub_f32_e32 v86, v91, v99
	ds_store_2addr_b64 v247, v[0:1], v[4:5] offset0:60 offset1:70
	v_dual_sub_f32 v0, v6, v102 :: v_dual_sub_f32 v1, v7, v103
	v_sub_f32_e32 v4, v12, v15
	v_sub_f32_e32 v5, v127, v11
	;; [unrolled: 1-line block ×3, first 2 shown]
	ds_store_2addr_b64 v247, v[0:1], v[4:5] offset0:80 offset1:90
	v_sub_f32_e32 v0, v76, v82
	v_sub_f32_e32 v1, v88, v85
	;; [unrolled: 1-line block ×3, first 2 shown]
	v_dual_add_f32 v5, v79, v83 :: v_dual_add_f32 v4, v81, v89
	s_delay_alu instid0(VALU_DEP_3) | instskip(SKIP_2) | instid1(VALU_DEP_4)
	v_add_f32_e32 v6, v0, v1
	v_sub_f32_e32 v0, v74, v79
	v_sub_f32_e32 v1, v87, v83
	v_fma_f32 v105, -0.5, v5, v3
	v_add_f32_e32 v4, v4, v92
	s_delay_alu instid0(VALU_DEP_3) | instskip(SKIP_2) | instid1(VALU_DEP_4)
	v_add_f32_e32 v7, v0, v1
	v_sub_f32_e32 v0, v91, v93
	v_sub_f32_e32 v1, v99, v95
	v_dual_fmamk_f32 v107, v106, 0xbf737871, v105 :: v_dual_add_f32 v4, v4, v94
	s_delay_alu instid0(VALU_DEP_2) | instskip(SKIP_1) | instid1(VALU_DEP_3)
	v_dual_fmac_f32 v105, 0x3f737871, v106 :: v_dual_add_f32 v10, v0, v1
	v_dual_sub_f32 v0, v89, v92 :: v_dual_sub_f32 v1, v98, v94
	v_fmac_f32_e32 v107, 0xbf167918, v108
	s_delay_alu instid0(VALU_DEP_3) | instskip(NEXT) | instid1(VALU_DEP_3)
	v_fmac_f32_e32 v105, 0x3f167918, v108
	v_dual_add_f32 v11, v0, v1 :: v_dual_add_f32 v0, v93, v95
	s_delay_alu instid0(VALU_DEP_3) | instskip(NEXT) | instid1(VALU_DEP_3)
	v_fmac_f32_e32 v107, 0x3e9e377a, v7
	v_fmac_f32_e32 v105, 0x3e9e377a, v7
	s_delay_alu instid0(VALU_DEP_3) | instskip(SKIP_1) | instid1(VALU_DEP_2)
	v_fma_f32 v12, -0.5, v0, v80
	v_add_f32_e32 v0, v92, v94
	v_fmamk_f32 v1, v96, 0x3f737871, v12
	s_delay_alu instid0(VALU_DEP_2) | instskip(SKIP_1) | instid1(VALU_DEP_3)
	v_fma_f32 v15, -0.5, v0, v81
	v_fmac_f32_e32 v12, 0xbf737871, v96
	v_fmac_f32_e32 v1, 0x3f167918, v97
	s_delay_alu instid0(VALU_DEP_3) | instskip(SKIP_1) | instid1(VALU_DEP_4)
	v_fmamk_f32 v0, v86, 0xbf737871, v15
	v_fmac_f32_e32 v15, 0x3f737871, v86
	v_fmac_f32_e32 v12, 0xbf167918, v97
	s_delay_alu instid0(VALU_DEP_4) | instskip(NEXT) | instid1(VALU_DEP_4)
	v_fmac_f32_e32 v1, 0x3e9e377a, v10
	v_fmac_f32_e32 v0, 0xbf167918, v90
	s_delay_alu instid0(VALU_DEP_4) | instskip(NEXT) | instid1(VALU_DEP_4)
	;; [unrolled: 3-line block ×3, first 2 shown]
	v_mul_f32_e32 v101, 0xbf167918, v1
	v_fmac_f32_e32 v0, 0x3e9e377a, v11
	s_delay_alu instid0(VALU_DEP_4) | instskip(NEXT) | instid1(VALU_DEP_2)
	v_fmac_f32_e32 v15, 0x3e9e377a, v11
	v_mul_f32_e32 v100, 0x3f167918, v0
	s_delay_alu instid0(VALU_DEP_4)
	v_fmac_f32_e32 v101, 0x3f4f1bbd, v0
	v_and_b32_e32 v0, 0xffff, v46
	v_add_f32_e32 v111, v4, v98
	v_mul_f32_e32 v7, 0xbf4f1bbd, v15
	v_fmac_f32_e32 v100, 0x3f4f1bbd, v1
	v_add_f32_e32 v1, v82, v85
	v_mul_u32_u24_e32 v0, 0x64, v0
	v_add_f32_e32 v5, v107, v101
	v_fmac_f32_e32 v7, 0xbf167918, v12
	s_delay_alu instid0(VALU_DEP_4) | instskip(NEXT) | instid1(VALU_DEP_4)
	v_fma_f32 v46, -0.5, v1, v2
	v_add_lshl_u32 v225, v0, v47, 3
	v_add_f32_e32 v0, v2, v76
	v_sub_f32_e32 v47, v74, v87
	v_add_f32_e32 v1, v80, v91
	s_delay_alu instid0(VALU_DEP_3) | instskip(NEXT) | instid1(VALU_DEP_2)
	v_add_f32_e32 v0, v0, v82
	v_dual_fmamk_f32 v102, v47, 0x3f737871, v46 :: v_dual_add_f32 v1, v1, v93
	v_fmac_f32_e32 v46, 0xbf737871, v47
	s_delay_alu instid0(VALU_DEP_3) | instskip(NEXT) | instid1(VALU_DEP_3)
	v_add_f32_e32 v0, v0, v85
	v_fmac_f32_e32 v102, 0x3f167918, v103
	s_delay_alu instid0(VALU_DEP_4) | instskip(NEXT) | instid1(VALU_DEP_4)
	v_add_f32_e32 v1, v1, v95
	v_fmac_f32_e32 v46, 0xbf167918, v103
	s_delay_alu instid0(VALU_DEP_4) | instskip(SKIP_1) | instid1(VALU_DEP_4)
	v_add_f32_e32 v104, v0, v88
	v_add_f32_e32 v0, v3, v74
	;; [unrolled: 1-line block ×3, first 2 shown]
	v_fmac_f32_e32 v102, 0x3e9e377a, v6
	v_fmac_f32_e32 v46, 0x3e9e377a, v6
	v_mul_f32_e32 v6, 0xbf4f1bbd, v12
	v_add_f32_e32 v0, v0, v79
	v_sub_f32_e32 v12, v57, v73
	v_add_f32_e32 v4, v102, v100
	s_delay_alu instid0(VALU_DEP_4) | instskip(NEXT) | instid1(VALU_DEP_4)
	v_fmac_f32_e32 v6, 0x3f167918, v15
	v_dual_add_f32 v0, v0, v83 :: v_dual_sub_f32 v15, v62, v66
	s_delay_alu instid0(VALU_DEP_1) | instskip(NEXT) | instid1(VALU_DEP_1)
	v_add_f32_e32 v109, v0, v87
	v_dual_add_f32 v0, v104, v110 :: v_dual_add_f32 v1, v109, v111
	ds_store_2addr_b64 v225, v[0:1], v[4:5] offset1:10
	v_add_f32_e32 v4, v76, v88
	v_sub_f32_e32 v0, v82, v76
	v_sub_f32_e32 v1, v85, v88
	v_add_f32_e32 v5, v74, v87
	s_delay_alu instid0(VALU_DEP_4) | instskip(SKIP_1) | instid1(VALU_DEP_4)
	v_fma_f32 v2, -0.5, v4, v2
	v_add_f32_e32 v4, v91, v99
	v_dual_add_f32 v0, v0, v1 :: v_dual_sub_f32 v1, v79, v74
	v_sub_f32_e32 v74, v83, v87
	s_delay_alu instid0(VALU_DEP_4) | instskip(SKIP_2) | instid1(VALU_DEP_3)
	v_fmamk_f32 v76, v103, 0xbf737871, v2
	v_dual_fmac_f32 v2, 0x3f737871, v103 :: v_dual_fmac_f32 v3, -0.5, v5
	v_dual_sub_f32 v5, v95, v99 :: v_dual_fmac_f32 v80, -0.5, v4
	v_fmac_f32_e32 v76, 0x3f167918, v47
	s_delay_alu instid0(VALU_DEP_3) | instskip(SKIP_1) | instid1(VALU_DEP_3)
	v_fmac_f32_e32 v2, 0xbf167918, v47
	v_dual_sub_f32 v4, v94, v98 :: v_dual_sub_f32 v47, v59, v65
	v_fmac_f32_e32 v76, 0x3e9e377a, v0
	s_delay_alu instid0(VALU_DEP_3) | instskip(SKIP_3) | instid1(VALU_DEP_2)
	v_fmac_f32_e32 v2, 0x3e9e377a, v0
	v_add_f32_e32 v0, v1, v74
	v_fmamk_f32 v74, v108, 0x3f737871, v3
	v_fmac_f32_e32 v3, 0xbf737871, v108
	v_dual_sub_f32 v1, v93, v91 :: v_dual_fmac_f32 v74, 0xbf167918, v106
	s_delay_alu instid0(VALU_DEP_2) | instskip(NEXT) | instid1(VALU_DEP_2)
	v_fmac_f32_e32 v3, 0x3f167918, v106
	v_fmac_f32_e32 v74, 0x3e9e377a, v0
	s_delay_alu instid0(VALU_DEP_2) | instskip(SKIP_3) | instid1(VALU_DEP_3)
	v_dual_fmac_f32 v3, 0x3e9e377a, v0 :: v_dual_add_f32 v0, v1, v5
	v_add_f32_e32 v1, v89, v98
	v_fmamk_f32 v5, v97, 0xbf737871, v80
	v_fmac_f32_e32 v80, 0x3f737871, v97
	v_fmac_f32_e32 v81, -0.5, v1
	v_sub_f32_e32 v1, v92, v89
	s_delay_alu instid0(VALU_DEP_4) | instskip(NEXT) | instid1(VALU_DEP_4)
	v_fmac_f32_e32 v5, 0x3f167918, v96
	v_fmac_f32_e32 v80, 0xbf167918, v96
	s_delay_alu instid0(VALU_DEP_2) | instskip(NEXT) | instid1(VALU_DEP_2)
	v_fmac_f32_e32 v5, 0x3e9e377a, v0
	v_fmac_f32_e32 v80, 0x3e9e377a, v0
	v_dual_add_f32 v0, v1, v4 :: v_dual_fmamk_f32 v1, v90, 0x3f737871, v81
	s_delay_alu instid0(VALU_DEP_3) | instskip(NEXT) | instid1(VALU_DEP_3)
	v_dual_fmac_f32 v81, 0xbf737871, v90 :: v_dual_mul_f32 v82, 0xbf737871, v5
	v_mul_f32_e32 v83, 0xbe9e377a, v80
	s_delay_alu instid0(VALU_DEP_3) | instskip(NEXT) | instid1(VALU_DEP_3)
	v_fmac_f32_e32 v1, 0xbf167918, v86
	v_dual_fmac_f32 v81, 0x3f167918, v86 :: v_dual_sub_f32 v86, v64, v72
	s_delay_alu instid0(VALU_DEP_2) | instskip(NEXT) | instid1(VALU_DEP_2)
	v_fmac_f32_e32 v1, 0x3e9e377a, v0
	v_fmac_f32_e32 v81, 0x3e9e377a, v0
	s_delay_alu instid0(VALU_DEP_2) | instskip(NEXT) | instid1(VALU_DEP_2)
	v_mul_f32_e32 v79, 0x3f737871, v1
	v_fmac_f32_e32 v83, 0x3f737871, v81
	v_mul_f32_e32 v81, 0xbe9e377a, v81
	v_fmac_f32_e32 v82, 0x3e9e377a, v1
	s_delay_alu instid0(VALU_DEP_3) | instskip(NEXT) | instid1(VALU_DEP_3)
	v_dual_fmac_f32 v79, 0x3e9e377a, v5 :: v_dual_add_f32 v4, v2, v83
	v_fmac_f32_e32 v81, 0xbf737871, v80
	s_delay_alu instid0(VALU_DEP_3) | instskip(NEXT) | instid1(VALU_DEP_2)
	v_dual_add_f32 v1, v74, v82 :: v_dual_sub_f32 v80, v63, v67
	v_dual_add_f32 v0, v76, v79 :: v_dual_add_f32 v5, v3, v81
	ds_store_2addr_b64 v225, v[0:1], v[4:5] offset0:20 offset1:30
	v_dual_sub_f32 v0, v104, v110 :: v_dual_sub_f32 v1, v109, v111
	v_dual_add_f32 v4, v46, v6 :: v_dual_add_f32 v5, v105, v7
	ds_store_2addr_b64 v225, v[4:5], v[0:1] offset0:40 offset1:50
	v_dual_sub_f32 v0, v102, v100 :: v_dual_sub_f32 v1, v107, v101
	v_dual_sub_f32 v4, v76, v79 :: v_dual_sub_f32 v5, v74, v82
	v_add_f32_e32 v82, v63, v67
	ds_store_2addr_b64 v225, v[0:1], v[4:5] offset0:60 offset1:70
	v_dual_sub_f32 v1, v3, v81 :: v_dual_sub_f32 v0, v2, v83
	v_dual_sub_f32 v2, v46, v6 :: v_dual_sub_f32 v3, v105, v7
	v_sub_f32_e32 v46, v51, v78
	v_fma_f32 v82, -0.5, v82, v9
	v_sub_f32_e32 v83, v58, v77
	ds_store_2addr_b64 v225, v[0:1], v[2:3] offset0:80 offset1:90
	v_sub_f32_e32 v0, v58, v64
	v_sub_f32_e32 v1, v77, v72
	v_dual_add_f32 v2, v64, v72 :: v_dual_add_f32 v3, v50, v51
	v_fmamk_f32 v85, v83, 0xbf737871, v82
	v_fmac_f32_e32 v82, 0x3f737871, v83
	s_delay_alu instid0(VALU_DEP_4) | instskip(SKIP_4) | instid1(VALU_DEP_3)
	v_add_f32_e32 v4, v0, v1
	v_sub_f32_e32 v0, v56, v63
	v_sub_f32_e32 v1, v75, v67
	v_add_f32_e32 v3, v3, v59
	v_fmac_f32_e32 v85, 0xbf167918, v86
	v_dual_fmac_f32 v82, 0x3f167918, v86 :: v_dual_add_f32 v5, v0, v1
	v_sub_f32_e32 v0, v57, v62
	v_sub_f32_e32 v1, v73, v66
	v_add_f32_e32 v3, v3, v65
	s_delay_alu instid0(VALU_DEP_4) | instskip(SKIP_1) | instid1(VALU_DEP_4)
	v_fmac_f32_e32 v85, 0x3e9e377a, v5
	v_fmac_f32_e32 v82, 0x3e9e377a, v5
	v_add_f32_e32 v6, v0, v1
	v_dual_sub_f32 v0, v51, v59 :: v_dual_sub_f32 v1, v78, v65
	v_add_f32_e32 v89, v3, v78
	s_delay_alu instid0(VALU_DEP_2) | instskip(NEXT) | instid1(VALU_DEP_1)
	v_dual_add_f32 v7, v0, v1 :: v_dual_add_f32 v0, v62, v66
	v_fma_f32 v10, -0.5, v0, v49
	s_delay_alu instid0(VALU_DEP_1) | instskip(NEXT) | instid1(VALU_DEP_1)
	v_dual_add_f32 v0, v59, v65 :: v_dual_fmamk_f32 v1, v46, 0x3f737871, v10
	v_fma_f32 v11, -0.5, v0, v50
	v_fmac_f32_e32 v10, 0xbf737871, v46
	s_delay_alu instid0(VALU_DEP_3) | instskip(NEXT) | instid1(VALU_DEP_3)
	v_fmac_f32_e32 v1, 0x3f167918, v47
	v_fmamk_f32 v0, v12, 0xbf737871, v11
	v_fmac_f32_e32 v11, 0x3f737871, v12
	s_delay_alu instid0(VALU_DEP_4) | instskip(NEXT) | instid1(VALU_DEP_4)
	v_fmac_f32_e32 v10, 0xbf167918, v47
	v_fmac_f32_e32 v1, 0x3e9e377a, v6
	s_delay_alu instid0(VALU_DEP_4) | instskip(NEXT) | instid1(VALU_DEP_4)
	v_fmac_f32_e32 v0, 0xbf167918, v15
	;; [unrolled: 3-line block ×3, first 2 shown]
	v_mul_f32_e32 v76, 0xbf167918, v1
	s_delay_alu instid0(VALU_DEP_4) | instskip(NEXT) | instid1(VALU_DEP_4)
	v_fmac_f32_e32 v0, 0x3e9e377a, v7
	v_fmac_f32_e32 v11, 0x3e9e377a, v7
	s_delay_alu instid0(VALU_DEP_2) | instskip(NEXT) | instid1(VALU_DEP_4)
	v_mul_f32_e32 v74, 0x3f167918, v0
	v_fmac_f32_e32 v76, 0x3f4f1bbd, v0
	v_mad_u16 v0, 0x64, v60, v61
	v_fma_f32 v60, -0.5, v2, v8
	s_delay_alu instid0(VALU_DEP_4) | instskip(SKIP_1) | instid1(VALU_DEP_4)
	v_dual_sub_f32 v61, v56, v75 :: v_dual_fmac_f32 v74, 0x3f4f1bbd, v1
	v_dual_add_f32 v1, v8, v58 :: v_dual_add_f32 v2, v49, v57
	v_and_b32_e32 v90, 0xffff, v0
	s_delay_alu instid0(VALU_DEP_3) | instskip(SKIP_1) | instid1(VALU_DEP_4)
	v_fmamk_f32 v79, v61, 0x3f737871, v60
	v_add_f32_e32 v3, v85, v76
	v_dual_add_f32 v1, v1, v64 :: v_dual_add_f32 v2, v2, v62
	s_delay_alu instid0(VALU_DEP_4) | instskip(NEXT) | instid1(VALU_DEP_4)
	v_lshlrev_b32_e32 v223, 3, v90
	v_fmac_f32_e32 v79, 0x3f167918, v80
	s_delay_alu instid0(VALU_DEP_3) | instskip(NEXT) | instid1(VALU_DEP_4)
	v_dual_fmac_f32 v60, 0xbf737871, v61 :: v_dual_add_f32 v1, v1, v72
	v_dual_add_f32 v2, v2, v66 :: v_dual_mul_f32 v5, 0xbf4f1bbd, v11
	s_delay_alu instid0(VALU_DEP_3) | instskip(NEXT) | instid1(VALU_DEP_3)
	v_fmac_f32_e32 v79, 0x3e9e377a, v4
	v_dual_fmac_f32 v60, 0xbf167918, v80 :: v_dual_add_f32 v81, v1, v77
	s_delay_alu instid0(VALU_DEP_3) | instskip(NEXT) | instid1(VALU_DEP_3)
	v_dual_add_f32 v1, v9, v56 :: v_dual_add_f32 v88, v2, v73
	v_add_f32_e32 v2, v79, v74
	s_delay_alu instid0(VALU_DEP_3) | instskip(NEXT) | instid1(VALU_DEP_3)
	v_fmac_f32_e32 v60, 0x3e9e377a, v4
	v_dual_mul_f32 v4, 0xbf4f1bbd, v10 :: v_dual_add_f32 v1, v1, v63
	s_delay_alu instid0(VALU_DEP_4) | instskip(NEXT) | instid1(VALU_DEP_2)
	v_dual_add_f32 v0, v81, v88 :: v_dual_fmac_f32 v5, 0xbf167918, v10
	v_fmac_f32_e32 v4, 0x3f167918, v11
	s_delay_alu instid0(VALU_DEP_3) | instskip(NEXT) | instid1(VALU_DEP_1)
	v_add_f32_e32 v1, v1, v67
	v_add_f32_e32 v87, v1, v75
	s_delay_alu instid0(VALU_DEP_1)
	v_add_f32_e32 v1, v87, v89
	ds_store_2addr_b64 v223, v[0:1], v[2:3] offset1:10
	v_add_f32_e32 v2, v58, v77
	v_sub_f32_e32 v0, v64, v58
	v_sub_f32_e32 v1, v72, v77
	v_add_f32_e32 v3, v56, v75
	s_delay_alu instid0(VALU_DEP_4) | instskip(SKIP_1) | instid1(VALU_DEP_4)
	v_fma_f32 v8, -0.5, v2, v8
	v_add_f32_e32 v2, v57, v73
	v_dual_add_f32 v0, v0, v1 :: v_dual_sub_f32 v1, v63, v56
	v_sub_f32_e32 v56, v67, v75
	s_delay_alu instid0(VALU_DEP_4) | instskip(SKIP_2) | instid1(VALU_DEP_3)
	v_fmamk_f32 v58, v80, 0xbf737871, v8
	v_dual_fmac_f32 v8, 0x3f737871, v80 :: v_dual_fmac_f32 v9, -0.5, v3
	v_sub_f32_e32 v3, v66, v73
	v_dual_fmac_f32 v49, -0.5, v2 :: v_dual_fmac_f32 v58, 0x3f167918, v61
	s_delay_alu instid0(VALU_DEP_3) | instskip(SKIP_1) | instid1(VALU_DEP_3)
	v_fmac_f32_e32 v8, 0xbf167918, v61
	v_sub_f32_e32 v2, v65, v78
	v_fmac_f32_e32 v58, 0x3e9e377a, v0
	s_delay_alu instid0(VALU_DEP_3) | instskip(SKIP_3) | instid1(VALU_DEP_2)
	v_fmac_f32_e32 v8, 0x3e9e377a, v0
	v_add_f32_e32 v0, v1, v56
	v_fmamk_f32 v56, v86, 0x3f737871, v9
	v_fmac_f32_e32 v9, 0xbf737871, v86
	v_dual_sub_f32 v1, v62, v57 :: v_dual_fmac_f32 v56, 0xbf167918, v83
	s_delay_alu instid0(VALU_DEP_2) | instskip(NEXT) | instid1(VALU_DEP_2)
	v_fmac_f32_e32 v9, 0x3f167918, v83
	v_fmac_f32_e32 v56, 0x3e9e377a, v0
	s_delay_alu instid0(VALU_DEP_2) | instskip(SKIP_2) | instid1(VALU_DEP_2)
	v_dual_fmac_f32 v9, 0x3e9e377a, v0 :: v_dual_add_f32 v0, v1, v3
	v_add_f32_e32 v1, v51, v78
	v_fmamk_f32 v3, v47, 0xbf737871, v49
	v_dual_fmac_f32 v49, 0x3f737871, v47 :: v_dual_fmac_f32 v50, -0.5, v1
	v_sub_f32_e32 v1, v59, v51
	s_delay_alu instid0(VALU_DEP_3) | instskip(NEXT) | instid1(VALU_DEP_3)
	v_fmac_f32_e32 v3, 0x3f167918, v46
	v_fmac_f32_e32 v49, 0xbf167918, v46
	s_delay_alu instid0(VALU_DEP_2) | instskip(NEXT) | instid1(VALU_DEP_2)
	v_fmac_f32_e32 v3, 0x3e9e377a, v0
	v_dual_fmac_f32 v49, 0x3e9e377a, v0 :: v_dual_add_f32 v0, v1, v2
	v_fmamk_f32 v1, v15, 0x3f737871, v50
	v_fmac_f32_e32 v50, 0xbf737871, v15
	s_delay_alu instid0(VALU_DEP_4) | instskip(NEXT) | instid1(VALU_DEP_4)
	v_mul_f32_e32 v57, 0xbf737871, v3
	v_mul_f32_e32 v59, 0xbe9e377a, v49
	s_delay_alu instid0(VALU_DEP_4) | instskip(NEXT) | instid1(VALU_DEP_4)
	v_fmac_f32_e32 v1, 0xbf167918, v12
	v_fmac_f32_e32 v50, 0x3f167918, v12
	s_delay_alu instid0(VALU_DEP_2) | instskip(NEXT) | instid1(VALU_DEP_2)
	v_fmac_f32_e32 v1, 0x3e9e377a, v0
	v_fmac_f32_e32 v50, 0x3e9e377a, v0
	s_delay_alu instid0(VALU_DEP_2) | instskip(NEXT) | instid1(VALU_DEP_2)
	v_mul_f32_e32 v51, 0x3f737871, v1
	v_fmac_f32_e32 v59, 0x3f737871, v50
	v_mul_f32_e32 v50, 0xbe9e377a, v50
	v_fmac_f32_e32 v57, 0x3e9e377a, v1
	s_delay_alu instid0(VALU_DEP_4) | instskip(NEXT) | instid1(VALU_DEP_4)
	v_fmac_f32_e32 v51, 0x3e9e377a, v3
	v_add_f32_e32 v2, v8, v59
	s_delay_alu instid0(VALU_DEP_4) | instskip(NEXT) | instid1(VALU_DEP_3)
	v_fmac_f32_e32 v50, 0xbf737871, v49
	v_dual_add_f32 v1, v56, v57 :: v_dual_add_f32 v0, v58, v51
	s_delay_alu instid0(VALU_DEP_2)
	v_add_f32_e32 v3, v9, v50
	ds_store_2addr_b64 v223, v[0:1], v[2:3] offset0:20 offset1:30
	v_dual_sub_f32 v0, v81, v88 :: v_dual_sub_f32 v1, v87, v89
	v_dual_add_f32 v2, v60, v4 :: v_dual_add_f32 v3, v82, v5
	ds_store_2addr_b64 v223, v[2:3], v[0:1] offset0:40 offset1:50
	v_dual_sub_f32 v0, v79, v74 :: v_dual_sub_f32 v1, v85, v76
	v_dual_sub_f32 v2, v58, v51 :: v_dual_sub_f32 v3, v56, v57
	ds_store_2addr_b64 v223, v[0:1], v[2:3] offset0:60 offset1:70
	v_dual_sub_f32 v1, v9, v50 :: v_dual_sub_f32 v0, v8, v59
	v_dual_sub_f32 v2, v60, v4 :: v_dual_sub_f32 v3, v82, v5
	ds_store_2addr_b64 v223, v[0:1], v[2:3] offset0:80 offset1:90
	v_mul_lo_u16 v0, v45, 41
	v_add_nc_u32_e32 v1, 0xffffff9c, v138
	global_wb scope:SCOPE_SE
	s_wait_storecnt_dscnt 0x0
	s_barrier_signal -1
	s_barrier_wait -1
	v_lshrrev_b16 v85, 12, v0
	v_cndmask_b32_e32 v141, v1, v138, vcc_lo
	global_inv scope:SCOPE_SE
	v_mul_lo_u16 v0, 0x64, v85
	v_mul_i32_i24_e32 v1, 40, v141
	v_mul_hi_i32_i24_e32 v2, 40, v141
	s_delay_alu instid0(VALU_DEP_3) | instskip(NEXT) | instid1(VALU_DEP_3)
	v_sub_nc_u16 v0, v44, v0
	v_add_co_u32 v5, vcc_lo, s10, v1
	s_wait_alu 0xfffd
	s_delay_alu instid0(VALU_DEP_3) | instskip(NEXT) | instid1(VALU_DEP_3)
	v_add_co_ci_u32_e32 v6, vcc_lo, s11, v2, vcc_lo
	v_and_b32_e32 v90, 0xff, v0
	ds_load_2addr_b64 v[0:3], v217 offset0:48 offset1:168
	v_cmp_lt_u16_e32 vcc_lo, 0x63, v84
	s_clause 0x1
	global_load_b128 v[204:207], v[5:6], off offset:720
	global_load_b128 v[56:59], v[5:6], off offset:736
	v_mad_co_u64_u32 v[7:8], null, v90, 40, s[10:11]
	s_clause 0x1
	global_load_b128 v[44:47], v[7:8], off offset:720
	global_load_b128 v[64:67], v[7:8], off offset:736
	s_wait_loadcnt_dscnt 0x300
	v_mul_f32_e32 v4, v1, v207
	v_mul_f32_e32 v12, v0, v207
	s_delay_alu instid0(VALU_DEP_2) | instskip(NEXT) | instid1(VALU_DEP_2)
	v_fma_f32 v11, v0, v206, -v4
	v_fmac_f32_e32 v12, v1, v206
	s_wait_loadcnt 0x1
	v_mul_f32_e32 v0, v3, v47
	v_mul_f32_e32 v142, v2, v47
	s_delay_alu instid0(VALU_DEP_2) | instskip(NEXT) | instid1(VALU_DEP_2)
	v_fma_f32 v0, v2, v46, -v0
	v_fmac_f32_e32 v142, v3, v46
	ds_load_2addr_b64 v[1:4], v202 offset0:96 offset1:216
	s_wait_dscnt 0x0
	v_mul_f32_e32 v9, v2, v59
	v_mul_f32_e32 v49, v1, v59
	s_wait_loadcnt 0x0
	v_mul_f32_e32 v143, v3, v67
	s_delay_alu instid0(VALU_DEP_3) | instskip(SKIP_2) | instid1(VALU_DEP_4)
	v_fma_f32 v15, v1, v58, -v9
	v_mul_f32_e32 v1, v4, v67
	v_fmac_f32_e32 v49, v2, v58
	v_fmac_f32_e32 v143, v4, v66
	s_delay_alu instid0(VALU_DEP_3) | instskip(SKIP_1) | instid1(VALU_DEP_1)
	v_fma_f32 v144, v3, v66, -v1
	v_lshrrev_b16 v1, 2, v48
	v_and_b32_e32 v1, 0xffff, v1
	s_delay_alu instid0(VALU_DEP_1) | instskip(NEXT) | instid1(VALU_DEP_1)
	v_mul_u32_u24_e32 v1, 0x147b, v1
	v_lshrrev_b32_e32 v99, 17, v1
	s_delay_alu instid0(VALU_DEP_1) | instskip(NEXT) | instid1(VALU_DEP_1)
	v_mul_lo_u16 v1, 0x64, v99
	v_sub_nc_u16 v104, v48, v1
	s_delay_alu instid0(VALU_DEP_1) | instskip(NEXT) | instid1(VALU_DEP_1)
	v_mul_lo_u16 v1, v104, 40
	v_and_b32_e32 v1, 0xffff, v1
	s_delay_alu instid0(VALU_DEP_1)
	v_add_co_u32 v9, s2, s10, v1
	s_wait_alu 0xf1ff
	v_add_co_ci_u32_e64 v10, null, s11, 0, s2
	ds_load_2addr_b64 v[1:4], v185 offset0:80 offset1:200
	s_clause 0x1
	global_load_b128 v[60:63], v[9:10], off offset:720
	global_load_b128 v[72:75], v[9:10], off offset:736
	s_wait_dscnt 0x0
	v_mul_f32_e32 v48, v2, v45
	v_mul_f32_e32 v128, v1, v45
	s_delay_alu instid0(VALU_DEP_2) | instskip(SKIP_1) | instid1(VALU_DEP_2)
	v_fma_f32 v127, v1, v44, -v48
	s_wait_loadcnt 0x1
	v_dual_fmac_f32 v128, v2, v44 :: v_dual_mul_f32 v1, v4, v61
	v_mul_f32_e32 v98, v3, v61
	s_delay_alu instid0(VALU_DEP_2) | instskip(NEXT) | instid1(VALU_DEP_2)
	v_fma_f32 v97, v3, v60, -v1
	v_fmac_f32_e32 v98, v4, v60
	ds_load_2addr_b64 v[1:4], v209 offset0:128 offset1:248
	s_clause 0x2
	global_load_b64 v[237:238], v[7:8], off offset:752
	global_load_b64 v[241:242], v[9:10], off offset:752
	;; [unrolled: 1-line block ×3, first 2 shown]
	s_wait_dscnt 0x0
	v_mul_f32_e32 v48, v2, v65
	v_mul_f32_e32 v145, v1, v65
	s_wait_loadcnt 0x3
	v_mul_f32_e32 v119, v3, v73
	s_delay_alu instid0(VALU_DEP_3) | instskip(SKIP_2) | instid1(VALU_DEP_4)
	v_fma_f32 v146, v1, v64, -v48
	v_mul_f32_e32 v1, v4, v73
	v_fmac_f32_e32 v145, v2, v64
	v_fmac_f32_e32 v119, v4, v72
	s_delay_alu instid0(VALU_DEP_3)
	v_fma_f32 v122, v3, v72, -v1
	ds_load_2addr_b64 v[1:4], v201 offset0:48 offset1:168
	s_wait_loadcnt_dscnt 0x200
	v_mul_f32_e32 v7, v2, v238
	v_mul_f32_e32 v147, v1, v238
	s_wait_loadcnt 0x1
	v_mul_f32_e32 v123, v3, v242
	s_delay_alu instid0(VALU_DEP_3) | instskip(SKIP_2) | instid1(VALU_DEP_4)
	v_fma_f32 v148, v1, v237, -v7
	v_mul_f32_e32 v1, v4, v242
	v_fmac_f32_e32 v147, v2, v237
	v_fmac_f32_e32 v123, v4, v241
	s_delay_alu instid0(VALU_DEP_3) | instskip(SKIP_1) | instid1(VALU_DEP_1)
	v_fma_f32 v126, v3, v241, -v1
	v_add_nc_u16 v1, v84, 0x168
	v_lshrrev_b16 v2, 2, v1
	s_delay_alu instid0(VALU_DEP_1) | instskip(NEXT) | instid1(VALU_DEP_1)
	v_and_b32_e32 v2, 0xffff, v2
	v_mul_u32_u24_e32 v2, 0x147b, v2
	s_delay_alu instid0(VALU_DEP_1) | instskip(NEXT) | instid1(VALU_DEP_1)
	v_lshrrev_b32_e32 v91, 17, v2
	v_mul_lo_u16 v2, 0x64, v91
	s_delay_alu instid0(VALU_DEP_1) | instskip(NEXT) | instid1(VALU_DEP_1)
	v_sub_nc_u16 v96, v1, v2
	v_mul_lo_u16 v1, v96, 40
	s_delay_alu instid0(VALU_DEP_1) | instskip(NEXT) | instid1(VALU_DEP_1)
	v_and_b32_e32 v1, 0xffff, v1
	v_add_co_u32 v7, s2, s10, v1
	s_wait_alu 0xf1ff
	v_add_co_ci_u32_e64 v8, null, s11, 0, s2
	ds_load_2addr_b64 v[1:4], v186 offset0:32 offset1:152
	s_clause 0x1
	global_load_b128 v[80:83], v[7:8], off offset:720
	global_load_b128 v[100:103], v[7:8], off offset:736
	s_wait_dscnt 0x0
	v_mul_f32_e32 v9, v2, v63
	v_mul_f32_e32 v130, v1, v63
	s_delay_alu instid0(VALU_DEP_2) | instskip(SKIP_1) | instid1(VALU_DEP_2)
	v_fma_f32 v129, v1, v62, -v9
	s_wait_loadcnt 0x1
	v_dual_fmac_f32 v130, v2, v62 :: v_dual_mul_f32 v1, v4, v83
	v_mul_f32_e32 v106, v3, v83
	s_delay_alu instid0(VALU_DEP_2) | instskip(NEXT) | instid1(VALU_DEP_2)
	v_fma_f32 v108, v3, v82, -v1
	v_fmac_f32_e32 v106, v4, v82
	ds_load_2addr_b64 v[1:4], v182 offset0:80 offset1:200
	s_wait_dscnt 0x0
	v_mul_f32_e32 v9, v2, v75
	v_mul_f32_e32 v138, v1, v75
	s_wait_loadcnt 0x0
	v_mul_f32_e32 v117, v3, v103
	s_delay_alu instid0(VALU_DEP_3) | instskip(NEXT) | instid1(VALU_DEP_3)
	v_fma_f32 v137, v1, v74, -v9
	v_dual_mul_f32 v1, v4, v103 :: v_dual_fmac_f32 v138, v2, v74
	s_delay_alu instid0(VALU_DEP_3) | instskip(NEXT) | instid1(VALU_DEP_2)
	v_fmac_f32_e32 v117, v4, v102
	v_fma_f32 v118, v3, v102, -v1
	v_add_nc_u16 v1, v84, 0x1e0
	s_delay_alu instid0(VALU_DEP_1) | instskip(NEXT) | instid1(VALU_DEP_1)
	v_lshrrev_b16 v2, 2, v1
	v_and_b32_e32 v2, 0xffff, v2
	s_delay_alu instid0(VALU_DEP_1) | instskip(NEXT) | instid1(VALU_DEP_1)
	v_mul_u32_u24_e32 v2, 0x147b, v2
	v_lshrrev_b32_e32 v88, 17, v2
	s_delay_alu instid0(VALU_DEP_1) | instskip(NEXT) | instid1(VALU_DEP_1)
	v_mul_lo_u16 v2, 0x64, v88
	v_sub_nc_u16 v89, v1, v2
	s_delay_alu instid0(VALU_DEP_1) | instskip(NEXT) | instid1(VALU_DEP_1)
	v_mul_lo_u16 v1, v89, 40
	v_and_b32_e32 v1, 0xffff, v1
	s_delay_alu instid0(VALU_DEP_1)
	v_add_co_u32 v9, s2, s10, v1
	s_wait_alu 0xf1ff
	v_add_co_ci_u32_e64 v10, null, s11, 0, s2
	ds_load_2addr_b64 v[1:4], v192 offset0:64 offset1:184
	s_add_nc_u64 s[2:3], s[8:9], 0x7080
	s_clause 0x1
	global_load_b128 v[92:95], v[9:10], off offset:720
	global_load_b128 v[112:115], v[9:10], off offset:736
	s_wait_dscnt 0x0
	v_mul_f32_e32 v48, v2, v81
	v_mul_f32_e32 v110, v1, v81
	s_delay_alu instid0(VALU_DEP_2) | instskip(SKIP_1) | instid1(VALU_DEP_2)
	v_fma_f32 v109, v1, v80, -v48
	s_wait_loadcnt 0x1
	v_dual_fmac_f32 v110, v2, v80 :: v_dual_mul_f32 v1, v4, v93
	v_mul_f32_e32 v87, v3, v93
	s_delay_alu instid0(VALU_DEP_2) | instskip(NEXT) | instid1(VALU_DEP_2)
	v_fma_f32 v86, v3, v92, -v1
	v_fmac_f32_e32 v87, v4, v92
	ds_load_2addr_b64 v[1:4], v187 offset0:16 offset1:136
	s_wait_dscnt 0x0
	v_mul_f32_e32 v48, v4, v57
	v_dual_mul_f32 v150, v3, v57 :: v_dual_mul_f32 v105, v1, v95
	s_delay_alu instid0(VALU_DEP_2) | instskip(NEXT) | instid1(VALU_DEP_2)
	v_fma_f32 v149, v3, v56, -v48
	v_dual_mul_f32 v3, v2, v95 :: v_dual_fmac_f32 v150, v4, v56
	s_delay_alu instid0(VALU_DEP_3) | instskip(NEXT) | instid1(VALU_DEP_2)
	v_fmac_f32_e32 v105, v2, v94
	v_fma_f32 v107, v1, v94, -v3
	ds_load_2addr_b64 v[1:4], v203 offset0:112 offset1:232
	s_wait_dscnt 0x0
	v_mul_f32_e32 v48, v2, v101
	v_mul_f32_e32 v131, v1, v101
	s_wait_loadcnt 0x0
	v_mul_f32_e32 v111, v3, v113
	s_delay_alu instid0(VALU_DEP_3) | instskip(SKIP_2) | instid1(VALU_DEP_4)
	v_fma_f32 v136, v1, v100, -v48
	v_mul_f32_e32 v1, v4, v113
	v_fmac_f32_e32 v131, v2, v100
	v_fmac_f32_e32 v111, v4, v112
	s_delay_alu instid0(VALU_DEP_3)
	v_fma_f32 v116, v3, v112, -v1
	ds_load_2addr_b64 v[1:4], v194 offset0:64 offset1:184
	s_clause 0x1
	global_load_b64 v[227:228], v[7:8], off offset:752
	global_load_b64 v[229:230], v[9:10], off offset:752
	ds_load_2addr_b64 v[76:79], v208 offset1:120
	v_sub_f32_e32 v10, v12, v49
	s_wait_dscnt 0x1
	v_mul_f32_e32 v5, v4, v236
	v_mul_f32_e32 v6, v3, v236
	;; [unrolled: 1-line block ×3, first 2 shown]
	s_delay_alu instid0(VALU_DEP_3) | instskip(SKIP_1) | instid1(VALU_DEP_4)
	v_fma_f32 v5, v3, v235, -v5
	v_mul_f32_e32 v3, v2, v115
	v_fmac_f32_e32 v6, v4, v235
	s_delay_alu instid0(VALU_DEP_4) | instskip(NEXT) | instid1(VALU_DEP_3)
	v_fmac_f32_e32 v120, v2, v114
	v_fma_f32 v121, v1, v114, -v3
	ds_load_2addr_b64 v[1:4], v180 offset0:32 offset1:152
	s_wait_loadcnt_dscnt 0x100
	v_mul_f32_e32 v7, v2, v228
	s_wait_loadcnt 0x0
	v_dual_mul_f32 v139, v1, v228 :: v_dual_mul_f32 v124, v3, v230
	s_delay_alu instid0(VALU_DEP_2) | instskip(SKIP_1) | instid1(VALU_DEP_3)
	v_fma_f32 v140, v1, v227, -v7
	v_mul_f32_e32 v1, v4, v230
	v_fmac_f32_e32 v139, v2, v227
	v_add_f32_e32 v2, v76, v11
	v_fmac_f32_e32 v124, v4, v229
	v_add_f32_e32 v7, v149, v5
	v_fma_f32 v125, v3, v229, -v1
	v_add_f32_e32 v1, v77, v12
	v_add_f32_e32 v3, v150, v6
	s_delay_alu instid0(VALU_DEP_2)
	v_add_f32_e32 v9, v1, v49
	v_add_f32_e32 v1, v12, v49
	ds_load_2addr_b64 v[48:51], v255 offset0:96 offset1:216
	v_add_f32_e32 v12, v2, v15
	v_add_f32_e32 v2, v11, v15
	v_sub_f32_e32 v11, v11, v15
	v_fma_f32 v77, -0.5, v1, v77
	s_delay_alu instid0(VALU_DEP_3) | instskip(NEXT) | instid1(VALU_DEP_2)
	v_fma_f32 v76, -0.5, v2, v76
	v_fmamk_f32 v153, v11, 0xbf5db3d7, v77
	v_fmac_f32_e32 v77, 0x3f5db3d7, v11
	s_wait_dscnt 0x0
	v_mul_f32_e32 v15, v50, v205
	s_delay_alu instid0(VALU_DEP_1) | instskip(NEXT) | instid1(VALU_DEP_1)
	v_fmac_f32_e32 v15, v51, v204
	v_dual_add_f32 v4, v15, v150 :: v_dual_fmac_f32 v15, -0.5, v3
	v_dual_mul_f32 v3, v51, v205 :: v_dual_sub_f32 v150, v150, v6
	v_sub_f32_e32 v51, v149, v5
	s_delay_alu instid0(VALU_DEP_3) | instskip(NEXT) | instid1(VALU_DEP_3)
	v_add_f32_e32 v151, v4, v6
	v_fma_f32 v50, v50, v204, -v3
	s_delay_alu instid0(VALU_DEP_1) | instskip(NEXT) | instid1(VALU_DEP_1)
	v_dual_add_f32 v6, v9, v151 :: v_dual_add_f32 v3, v50, v149
	v_dual_fmac_f32 v50, -0.5, v7 :: v_dual_add_f32 v149, v3, v5
	s_delay_alu instid0(VALU_DEP_1) | instskip(SKIP_2) | instid1(VALU_DEP_3)
	v_fmamk_f32 v4, v150, 0x3f5db3d7, v50
	v_dual_fmamk_f32 v3, v51, 0xbf5db3d7, v15 :: v_dual_fmac_f32 v50, 0xbf5db3d7, v150
	v_fmac_f32_e32 v15, 0x3f5db3d7, v51
	v_dual_add_f32 v5, v12, v149 :: v_dual_mul_f32 v152, 0xbf5db3d7, v4
	s_delay_alu instid0(VALU_DEP_3) | instskip(SKIP_1) | instid1(VALU_DEP_3)
	v_mul_f32_e32 v84, 0x3f5db3d7, v3
	v_sub_f32_e32 v51, v145, v147
	v_fmac_f32_e32 v152, 0.5, v3
	s_wait_alu 0xfffd
	v_cndmask_b32_e64 v3, 0, 0x258, vcc_lo
	v_fmac_f32_e32 v84, 0.5, v4
	s_delay_alu instid0(VALU_DEP_3) | instskip(NEXT) | instid1(VALU_DEP_3)
	v_add_f32_e32 v8, v153, v152
	v_add_lshl_u32 v14, v141, v3, 3
	v_fmamk_f32 v141, v10, 0x3f5db3d7, v76
	ds_load_2addr_b64 v[1:4], v216 offset0:112 offset1:232
	v_fmac_f32_e32 v76, 0xbf5db3d7, v10
	v_mul_f32_e32 v10, -0.5, v15
	scratch_store_b32 off, v14, off offset:256 ; 4-byte Folded Spill
	v_add_f32_e32 v7, v141, v84
	global_wb scope:SCOPE_SE
	s_wait_storecnt_dscnt 0x0
	s_barrier_signal -1
	s_barrier_wait -1
	global_inv scope:SCOPE_SE
	ds_store_2addr_b64 v14, v[5:6], v[7:8] offset1:100
	v_dual_sub_f32 v6, v9, v151 :: v_dual_mul_f32 v9, -0.5, v50
	v_dual_fmac_f32 v10, 0xbf5db3d7, v50 :: v_dual_sub_f32 v5, v12, v149
	v_add_nc_u32_e32 v11, 0x400, v14
	s_delay_alu instid0(VALU_DEP_2) | instskip(SKIP_1) | instid1(VALU_DEP_2)
	v_dual_fmac_f32 v9, 0x3f5db3d7, v15 :: v_dual_add_f32 v8, v77, v10
	v_sub_f32_e32 v15, v146, v148
	v_add_f32_e32 v7, v76, v9
	ds_store_2addr_b64 v11, v[7:8], v[5:6] offset0:72 offset1:172
	v_sub_f32_e32 v5, v141, v84
	v_dual_sub_f32 v6, v153, v152 :: v_dual_sub_f32 v7, v76, v9
	v_sub_f32_e32 v8, v77, v10
	v_add_nc_u32_e32 v9, 0x800, v14
	scratch_store_b32 off, v11, off offset:248 ; 4-byte Folded Spill
	ds_store_2addr_b64 v9, v[5:6], v[7:8] offset0:144 offset1:244
	v_dual_add_f32 v5, v142, v143 :: v_dual_add_f32 v6, v79, v142
	v_dual_add_f32 v7, v127, v146 :: v_dual_add_f32 v8, v128, v145
	s_delay_alu instid0(VALU_DEP_2) | instskip(SKIP_1) | instid1(VALU_DEP_4)
	v_fmac_f32_e32 v79, -0.5, v5
	v_add_f32_e32 v5, v146, v148
	v_add_f32_e32 v12, v6, v143
	s_delay_alu instid0(VALU_DEP_4) | instskip(NEXT) | instid1(VALU_DEP_3)
	v_add_f32_e32 v50, v7, v148
	v_dual_add_f32 v76, v8, v147 :: v_dual_fmac_f32 v127, -0.5, v5
	s_delay_alu instid0(VALU_DEP_1) | instskip(NEXT) | instid1(VALU_DEP_1)
	v_dual_add_f32 v5, v145, v147 :: v_dual_fmamk_f32 v6, v51, 0x3f5db3d7, v127
	v_dual_fmac_f32 v128, -0.5, v5 :: v_dual_add_f32 v5, v78, v0
	v_fmac_f32_e32 v127, 0xbf5db3d7, v51
	s_delay_alu instid0(VALU_DEP_3) | instskip(NEXT) | instid1(VALU_DEP_3)
	v_dual_sub_f32 v11, v142, v143 :: v_dual_mul_f32 v84, 0xbf5db3d7, v6
	v_dual_sub_f32 v51, v119, v123 :: v_dual_add_f32 v10, v5, v144
	s_delay_alu instid0(VALU_DEP_4) | instskip(SKIP_1) | instid1(VALU_DEP_2)
	v_fmamk_f32 v5, v15, 0xbf5db3d7, v128
	v_dual_fmac_f32 v128, 0x3f5db3d7, v15 :: v_dual_sub_f32 v15, v129, v137
	v_mul_f32_e32 v77, 0x3f5db3d7, v5
	v_fmac_f32_e32 v84, 0.5, v5
	v_and_b32_e32 v5, 0xffff, v85
	s_delay_alu instid0(VALU_DEP_3) | instskip(NEXT) | instid1(VALU_DEP_2)
	v_dual_fmac_f32 v77, 0.5, v6 :: v_dual_add_f32 v6, v12, v76
	v_mul_u32_u24_e32 v5, 0x258, v5
	s_delay_alu instid0(VALU_DEP_1)
	v_add_lshl_u32 v14, v5, v90, 3
	scratch_store_b32 off, v9, off offset:252 ; 4-byte Folded Spill
	v_sub_f32_e32 v9, v0, v144
	v_dual_add_f32 v0, v0, v144 :: v_dual_add_f32 v5, v10, v50
	scratch_store_b32 off, v14, off offset:284 ; 4-byte Folded Spill
	v_fmamk_f32 v85, v9, 0xbf5db3d7, v79
	v_fma_f32 v0, -0.5, v0, v78
	v_fmac_f32_e32 v79, 0x3f5db3d7, v9
	v_mul_f32_e32 v9, -0.5, v128
	s_delay_alu instid0(VALU_DEP_4) | instskip(NEXT) | instid1(VALU_DEP_4)
	v_add_f32_e32 v8, v85, v84
	v_fmamk_f32 v78, v11, 0x3f5db3d7, v0
	v_fmac_f32_e32 v0, 0xbf5db3d7, v11
	s_delay_alu instid0(VALU_DEP_4) | instskip(SKIP_1) | instid1(VALU_DEP_4)
	v_fmac_f32_e32 v9, 0xbf5db3d7, v127
	v_add_nc_u32_e32 v11, 0x400, v14
	v_add_f32_e32 v7, v78, v77
	ds_store_2addr_b64 v14, v[5:6], v[7:8] offset1:100
	v_dual_sub_f32 v5, v10, v50 :: v_dual_mul_f32 v10, -0.5, v127
	v_sub_f32_e32 v6, v12, v76
	v_add_f32_e32 v8, v79, v9
	v_add_f32_e32 v12, v129, v137
	s_delay_alu instid0(VALU_DEP_4) | instskip(NEXT) | instid1(VALU_DEP_2)
	v_fmac_f32_e32 v10, 0x3f5db3d7, v128
	v_fma_f32 v12, -0.5, v12, v1
	s_delay_alu instid0(VALU_DEP_2)
	v_add_f32_e32 v7, v0, v10
	ds_store_2addr_b64 v11, v[7:8], v[5:6] offset0:72 offset1:172
	v_dual_sub_f32 v6, v79, v9 :: v_dual_sub_f32 v5, v0, v10
	v_dual_sub_f32 v7, v78, v77 :: v_dual_sub_f32 v8, v85, v84
	v_add_nc_u32_e32 v0, 0x800, v14
	scratch_store_b32 off, v11, off offset:260 ; 4-byte Folded Spill
	v_dual_add_f32 v11, v1, v129 :: v_dual_sub_f32 v10, v130, v138
	scratch_store_b32 off, v0, off offset:272 ; 4-byte Folded Spill
	ds_store_2addr_b64 v0, v[7:8], v[5:6] offset0:144 offset1:244
	v_add_f32_e32 v0, v119, v123
	v_add_f32_e32 v5, v98, v119
	v_sub_f32_e32 v8, v122, v126
	v_dual_add_f32 v6, v2, v130 :: v_dual_add_f32 v11, v11, v137
	s_delay_alu instid0(VALU_DEP_4) | instskip(SKIP_1) | instid1(VALU_DEP_3)
	v_fmac_f32_e32 v98, -0.5, v0
	v_add_f32_e32 v0, v97, v122
	v_dual_add_f32 v50, v5, v123 :: v_dual_add_f32 v9, v6, v138
	v_add_f32_e32 v6, v130, v138
	v_fmamk_f32 v79, v10, 0x3f5db3d7, v12
	s_delay_alu instid0(VALU_DEP_4) | instskip(SKIP_3) | instid1(VALU_DEP_3)
	v_add_f32_e32 v7, v0, v126
	v_add_f32_e32 v0, v122, v126
	;; [unrolled: 1-line block ×3, first 2 shown]
	v_fma_f32 v2, -0.5, v6, v2
	v_dual_fmac_f32 v12, 0xbf5db3d7, v10 :: v_dual_fmac_f32 v97, -0.5, v0
	v_fmamk_f32 v0, v8, 0xbf5db3d7, v98
	s_delay_alu instid0(VALU_DEP_3) | instskip(SKIP_1) | instid1(VALU_DEP_4)
	v_fmamk_f32 v84, v15, 0xbf5db3d7, v2
	v_fmac_f32_e32 v98, 0x3f5db3d7, v8
	v_dual_fmac_f32 v2, 0x3f5db3d7, v15 :: v_dual_fmamk_f32 v5, v51, 0x3f5db3d7, v97
	s_delay_alu instid0(VALU_DEP_4) | instskip(NEXT) | instid1(VALU_DEP_3)
	v_mul_f32_e32 v76, 0x3f5db3d7, v0
	v_dual_fmac_f32 v97, 0xbf5db3d7, v51 :: v_dual_mul_f32 v8, -0.5, v98
	v_sub_f32_e32 v15, v131, v139
	s_delay_alu instid0(VALU_DEP_4) | instskip(NEXT) | instid1(VALU_DEP_4)
	v_mul_f32_e32 v77, 0xbf5db3d7, v5
	v_fmac_f32_e32 v76, 0.5, v5
	v_mad_u16 v5, 0x258, v99, v104
	s_delay_alu instid0(VALU_DEP_3) | instskip(SKIP_1) | instid1(VALU_DEP_3)
	v_dual_fmac_f32 v8, 0xbf5db3d7, v97 :: v_dual_fmac_f32 v77, 0.5, v0
	v_add_f32_e32 v0, v11, v7
	v_dual_add_f32 v5, v79, v76 :: v_dual_and_b32 v78, 0xffff, v5
	s_delay_alu instid0(VALU_DEP_3) | instskip(NEXT) | instid1(VALU_DEP_2)
	v_add_f32_e32 v6, v84, v77
	v_lshlrev_b32_e32 v14, 3, v78
	ds_store_2addr_b64 v14, v[0:1], v[5:6] offset1:100
	v_dual_sub_f32 v0, v11, v7 :: v_dual_mul_f32 v7, -0.5, v97
	v_dual_sub_f32 v1, v9, v50 :: v_dual_add_f32 v6, v2, v8
	v_add_nc_u32_e32 v9, 0x400, v14
	v_sub_f32_e32 v11, v136, v140
	s_delay_alu instid0(VALU_DEP_4) | instskip(NEXT) | instid1(VALU_DEP_1)
	v_fmac_f32_e32 v7, 0x3f5db3d7, v98
	v_add_f32_e32 v5, v12, v7
	ds_store_2addr_b64 v9, v[5:6], v[0:1] offset0:72 offset1:172
	v_dual_sub_f32 v0, v79, v76 :: v_dual_sub_f32 v1, v84, v77
	v_dual_sub_f32 v5, v12, v7 :: v_dual_sub_f32 v6, v2, v8
	v_add_nc_u32_e32 v2, 0x800, v14
	s_clause 0x1
	scratch_store_b32 off, v14, off offset:292
	scratch_store_b32 off, v9, off offset:280
	v_add_f32_e32 v7, v108, v118
	v_sub_f32_e32 v9, v106, v117
	scratch_store_b32 off, v2, off offset:276 ; 4-byte Folded Spill
	ds_store_2addr_b64 v2, v[0:1], v[5:6] offset0:144 offset1:244
	v_dual_add_f32 v0, v106, v117 :: v_dual_add_f32 v1, v4, v106
	v_dual_add_f32 v2, v109, v136 :: v_dual_add_f32 v5, v110, v131
	v_sub_f32_e32 v6, v108, v118
	s_delay_alu instid0(VALU_DEP_3)
	v_fmac_f32_e32 v4, -0.5, v0
	v_add_f32_e32 v0, v136, v140
	v_add_f32_e32 v10, v1, v117
	v_add_f32_e32 v12, v2, v140
	v_mad_u16 v2, 0x258, v91, v96
	v_fma_f32 v7, -0.5, v7, v3
	v_dual_fmac_f32 v109, -0.5, v0 :: v_dual_add_f32 v0, v131, v139
	s_delay_alu instid0(VALU_DEP_3) | instskip(NEXT) | instid1(VALU_DEP_3)
	v_dual_add_f32 v5, v5, v139 :: v_dual_and_b32 v76, 0xffff, v2
	v_fmamk_f32 v77, v9, 0x3f5db3d7, v7
	s_delay_alu instid0(VALU_DEP_3) | instskip(SKIP_2) | instid1(VALU_DEP_3)
	v_dual_fmamk_f32 v1, v15, 0x3f5db3d7, v109 :: v_dual_fmac_f32 v110, -0.5, v0
	v_add_f32_e32 v0, v3, v108
	v_fmamk_f32 v78, v6, 0xbf5db3d7, v4
	v_dual_mul_f32 v51, 0xbf5db3d7, v1 :: v_dual_lshlrev_b32 v14, 3, v76
	s_delay_alu instid0(VALU_DEP_3) | instskip(SKIP_3) | instid1(VALU_DEP_4)
	v_dual_fmac_f32 v109, 0xbf5db3d7, v15 :: v_dual_add_f32 v8, v0, v118
	v_fmamk_f32 v0, v11, 0xbf5db3d7, v110
	v_fmac_f32_e32 v110, 0x3f5db3d7, v11
	v_fmac_f32_e32 v4, 0x3f5db3d7, v6
	v_mul_f32_e32 v6, -0.5, v109
	v_fmac_f32_e32 v7, 0xbf5db3d7, v9
	v_mul_f32_e32 v50, 0x3f5db3d7, v0
	v_fmac_f32_e32 v51, 0.5, v0
	v_add_f32_e32 v0, v8, v12
	v_dual_fmac_f32 v6, 0x3f5db3d7, v110 :: v_dual_sub_f32 v9, v116, v125
	s_delay_alu instid0(VALU_DEP_4) | instskip(SKIP_2) | instid1(VALU_DEP_3)
	v_fmac_f32_e32 v50, 0.5, v1
	v_add_f32_e32 v1, v10, v5
	v_add_f32_e32 v3, v78, v51
	v_dual_sub_f32 v11, v111, v124 :: v_dual_add_f32 v2, v77, v50
	ds_store_2addr_b64 v14, v[0:1], v[2:3] offset1:100
	v_sub_f32_e32 v1, v10, v5
	v_dual_mul_f32 v5, -0.5, v110 :: v_dual_sub_f32 v0, v8, v12
	v_add_f32_e32 v2, v7, v6
	v_add_nc_u32_e32 v8, 0x400, v14
	s_delay_alu instid0(VALU_DEP_3) | instskip(NEXT) | instid1(VALU_DEP_1)
	v_fmac_f32_e32 v5, 0xbf5db3d7, v109
	v_add_f32_e32 v3, v4, v5
	ds_store_2addr_b64 v8, v[2:3], v[0:1] offset0:72 offset1:172
	v_dual_sub_f32 v1, v4, v5 :: v_dual_sub_f32 v0, v7, v6
	v_dual_sub_f32 v2, v77, v50 :: v_dual_sub_f32 v3, v78, v51
	v_add_nc_u32_e32 v4, 0x800, v14
	s_clause 0x1
	scratch_store_b32 off, v14, off offset:288
	scratch_store_b32 off, v8, off offset:268
	v_add_f32_e32 v5, v107, v121
	v_sub_f32_e32 v7, v105, v120
	scratch_store_b32 off, v4, off offset:264 ; 4-byte Folded Spill
	ds_store_2addr_b64 v4, v[2:3], v[0:1] offset0:144 offset1:244
	v_add_f32_e32 v0, v105, v120
	v_dual_add_f32 v1, v49, v105 :: v_dual_add_f32 v2, v86, v116
	v_add_f32_e32 v3, v87, v111
	s_delay_alu instid0(VALU_DEP_3) | instskip(SKIP_1) | instid1(VALU_DEP_4)
	v_dual_sub_f32 v4, v107, v121 :: v_dual_fmac_f32 v49, -0.5, v0
	v_add_f32_e32 v0, v116, v125
	v_add_f32_e32 v8, v1, v120
	;; [unrolled: 1-line block ×3, first 2 shown]
	v_mad_u16 v2, 0x258, v88, v89
	v_fma_f32 v5, -0.5, v5, v48
	v_fmac_f32_e32 v86, -0.5, v0
	v_add_f32_e32 v0, v111, v124
	v_add_f32_e32 v12, v3, v124
	v_fmamk_f32 v76, v4, 0xbf5db3d7, v49
	v_fmamk_f32 v51, v7, 0x3f5db3d7, v5
	;; [unrolled: 1-line block ×3, first 2 shown]
	v_dual_fmac_f32 v87, -0.5, v0 :: v_dual_add_f32 v0, v48, v107
	v_and_b32_e32 v48, 0xffff, v2
	v_fmac_f32_e32 v86, 0xbf5db3d7, v11
	s_delay_alu instid0(VALU_DEP_4) | instskip(NEXT) | instid1(VALU_DEP_4)
	v_mul_f32_e32 v50, 0xbf5db3d7, v1
	v_dual_fmac_f32 v49, 0x3f5db3d7, v4 :: v_dual_add_f32 v6, v0, v121
	v_fmamk_f32 v0, v9, 0xbf5db3d7, v87
	v_dual_fmac_f32 v87, 0x3f5db3d7, v9 :: v_dual_lshlrev_b32 v14, 3, v48
	v_fmac_f32_e32 v5, 0xbf5db3d7, v7
	s_delay_alu instid0(VALU_DEP_3) | instskip(SKIP_3) | instid1(VALU_DEP_4)
	v_mul_f32_e32 v15, 0x3f5db3d7, v0
	v_fmac_f32_e32 v50, 0.5, v0
	v_add_f32_e32 v0, v6, v10
	v_dual_mul_f32 v4, -0.5, v87 :: v_dual_add_nc_u32 v7, 0x400, v14
	v_fmac_f32_e32 v15, 0.5, v1
	v_add_f32_e32 v1, v8, v12
	s_delay_alu instid0(VALU_DEP_2)
	v_dual_add_f32 v3, v76, v50 :: v_dual_add_f32 v2, v51, v15
	ds_store_2addr_b64 v14, v[0:1], v[2:3] offset1:100
	v_sub_f32_e32 v0, v6, v10
	v_dual_mul_f32 v6, -0.5, v86 :: v_dual_sub_f32 v1, v8, v12
	v_mad_co_u64_u32 v[11:12], null, v13, 40, s[10:11]
	v_add_nc_u32_e32 v13, 0x2800, v208
	s_delay_alu instid0(VALU_DEP_3) | instskip(NEXT) | instid1(VALU_DEP_2)
	v_fmac_f32_e32 v6, 0x3f5db3d7, v87
	v_dual_fmac_f32 v4, 0xbf5db3d7, v86 :: v_dual_mov_b32 v19, v13
	s_delay_alu instid0(VALU_DEP_2) | instskip(NEXT) | instid1(VALU_DEP_2)
	v_add_f32_e32 v2, v5, v6
	v_add_f32_e32 v3, v49, v4
	ds_store_2addr_b64 v7, v[2:3], v[0:1] offset0:72 offset1:172
	v_sub_f32_e32 v1, v49, v4
	v_sub_f32_e32 v0, v5, v6
	v_dual_sub_f32 v2, v51, v15 :: v_dual_sub_f32 v3, v76, v50
	v_add_nc_u32_e32 v4, 0x800, v14
	s_clause 0x1
	scratch_store_b32 off, v14, off offset:304
	scratch_store_b32 off, v7, off offset:300
	v_mov_b32_e32 v14, v182
	scratch_store_b32 off, v4, off offset:296 ; 4-byte Folded Spill
	ds_store_2addr_b64 v4, v[2:3], v[0:1] offset0:144 offset1:244
	global_wb scope:SCOPE_SE
	s_wait_storecnt_dscnt 0x0
	s_barrier_signal -1
	s_barrier_wait -1
	global_inv scope:SCOPE_SE
	s_clause 0x7
	global_load_b128 v[48:51], v[11:12], off offset:4720
	global_load_b128 v[88:91], v[11:12], off offset:4736
	;; [unrolled: 1-line block ×3, first 2 shown]
	global_load_b64 v[197:198], v[11:12], off offset:4752
	global_load_b128 v[96:99], v[11:12], off offset:9536
	global_load_b64 v[239:240], v[11:12], off offset:9552
	global_load_b128 v[84:87], v[11:12], off offset:14320
	global_load_b64 v[199:200], v[11:12], off offset:14352
	ds_load_2addr_b64 v[0:3], v217 offset0:48 offset1:168
	ds_load_2addr_b64 v[106:109], v209 offset0:128 offset1:248
	global_load_b128 v[120:123], v[11:12], off offset:19136
	ds_load_2addr_b64 v[116:119], v186 offset0:32 offset1:152
	ds_load_2addr_b64 v[124:127], v192 offset0:64 offset1:184
	s_wait_loadcnt_dscnt 0x803
	v_mul_f32_e32 v4, v1, v51
	v_mul_f32_e32 v164, v0, v51
	s_wait_loadcnt 0x6
	v_mul_f32_e32 v6, v2, v79
	s_wait_loadcnt_dscnt 0x402
	v_mul_f32_e32 v159, v106, v97
	v_fma_f32 v15, v0, v50, -v4
	v_mul_f32_e32 v0, v3, v79
	v_fmac_f32_e32 v164, v1, v50
	v_fmac_f32_e32 v6, v3, v78
	s_wait_loadcnt_dscnt 0x201
	v_dual_fmac_f32 v159, v107, v96 :: v_dual_mul_f32 v154, v116, v87
	v_fma_f32 v7, v2, v78, -v0
	ds_load_2addr_b64 v[0:3], v202 offset0:96 offset1:216
	v_fmac_f32_e32 v154, v117, v86
	s_wait_dscnt 0x0
	v_mul_f32_e32 v4, v1, v91
	v_mul_f32_e32 v166, v0, v91
	;; [unrolled: 1-line block ×3, first 2 shown]
	s_delay_alu instid0(VALU_DEP_3) | instskip(SKIP_1) | instid1(VALU_DEP_3)
	v_fma_f32 v165, v0, v90, -v4
	v_mul_f32_e32 v0, v3, v99
	v_fmac_f32_e32 v8, v3, v98
	v_fmac_f32_e32 v166, v1, v90
	s_delay_alu instid0(VALU_DEP_3) | instskip(SKIP_4) | instid1(VALU_DEP_2)
	v_fma_f32 v158, v2, v98, -v0
	ds_load_2addr_b64 v[2:5], v185 offset0:80 offset1:200
	s_wait_dscnt 0x0
	v_mul_f32_e32 v0, v3, v77
	v_mul_f32_e32 v148, v4, v85
	v_fma_f32 v147, v2, v76, -v0
	v_mul_f32_e32 v0, v5, v85
	s_delay_alu instid0(VALU_DEP_3) | instskip(SKIP_1) | instid1(VALU_DEP_3)
	v_fmac_f32_e32 v148, v5, v84
	v_mul_f32_e32 v2, v2, v77
	v_fma_f32 v144, v4, v84, -v0
	v_mul_f32_e32 v0, v107, v97
	s_delay_alu instid0(VALU_DEP_3) | instskip(NEXT) | instid1(VALU_DEP_2)
	v_fmac_f32_e32 v2, v3, v76
	v_fma_f32 v176, v106, v96, -v0
	global_load_b128 v[104:107], v[11:12], off offset:14336
	s_wait_loadcnt 0x0
	v_mul_f32_e32 v0, v109, v105
	v_mul_f32_e32 v10, v108, v105
	s_delay_alu instid0(VALU_DEP_2) | instskip(NEXT) | instid1(VALU_DEP_2)
	v_fma_f32 v9, v108, v104, -v0
	v_fmac_f32_e32 v10, v109, v104
	ds_load_2addr_b64 v[108:111], v201 offset0:48 offset1:168
	s_wait_dscnt 0x0
	v_mul_f32_e32 v0, v109, v240
	v_mul_f32_e32 v178, v108, v240
	;; [unrolled: 1-line block ×3, first 2 shown]
	s_delay_alu instid0(VALU_DEP_3) | instskip(SKIP_1) | instid1(VALU_DEP_4)
	v_fma_f32 v177, v108, v239, -v0
	v_mul_f32_e32 v0, v111, v200
	v_fmac_f32_e32 v178, v109, v239
	s_delay_alu instid0(VALU_DEP_4) | instskip(NEXT) | instid1(VALU_DEP_3)
	v_fmac_f32_e32 v152, v111, v199
	v_fma_f32 v151, v110, v199, -v0
	global_load_b128 v[108:111], v[11:12], off offset:19120
	v_mul_f32_e32 v0, v117, v87
	s_delay_alu instid0(VALU_DEP_1) | instskip(SKIP_3) | instid1(VALU_DEP_2)
	v_fma_f32 v4, v116, v86, -v0
	s_wait_loadcnt 0x0
	v_mul_f32_e32 v0, v119, v111
	v_dual_mul_f32 v146, v118, v111 :: v_dual_mul_f32 v3, v124, v109
	v_fma_f32 v0, v118, v110, -v0
	s_delay_alu instid0(VALU_DEP_2)
	v_fmac_f32_e32 v146, v119, v110
	ds_load_2addr_b64 v[116:119], v182 offset0:80 offset1:200
	v_fmac_f32_e32 v3, v125, v108
	s_wait_dscnt 0x0
	v_mul_f32_e32 v1, v117, v107
	v_mul_f32_e32 v155, v116, v107
	;; [unrolled: 1-line block ×3, first 2 shown]
	s_delay_alu instid0(VALU_DEP_3) | instskip(SKIP_1) | instid1(VALU_DEP_4)
	v_fma_f32 v5, v116, v106, -v1
	v_mul_f32_e32 v1, v119, v123
	v_fmac_f32_e32 v155, v117, v106
	s_delay_alu instid0(VALU_DEP_4) | instskip(NEXT) | instid1(VALU_DEP_3)
	v_fmac_f32_e32 v153, v119, v122
	v_fma_f32 v150, v118, v122, -v1
	global_load_b128 v[116:119], v[11:12], off offset:23920
	v_mul_f32_e32 v1, v125, v109
	s_delay_alu instid0(VALU_DEP_1) | instskip(SKIP_3) | instid1(VALU_DEP_2)
	v_fma_f32 v149, v124, v108, -v1
	s_wait_loadcnt 0x0
	v_mul_f32_e32 v1, v127, v117
	v_mul_f32_e32 v137, v126, v117
	v_fma_f32 v136, v126, v116, -v1
	s_delay_alu instid0(VALU_DEP_2) | instskip(SKIP_4) | instid1(VALU_DEP_2)
	v_fmac_f32_e32 v137, v127, v116
	ds_load_2addr_b64 v[124:127], v187 offset0:16 offset1:136
	s_wait_dscnt 0x0
	v_mul_f32_e32 v1, v127, v89
	v_dual_mul_f32 v170, v126, v89 :: v_dual_mul_f32 v139, v124, v119
	v_fma_f32 v167, v126, v88, -v1
	s_delay_alu instid0(VALU_DEP_2) | instskip(SKIP_3) | instid1(VALU_DEP_2)
	v_fmac_f32_e32 v170, v127, v88
	ds_load_2addr_b64 v[126:129], v203 offset0:112 offset1:232
	v_mul_f32_e32 v1, v125, v119
	v_fmac_f32_e32 v139, v125, v118
	v_fma_f32 v138, v124, v118, -v1
	s_wait_dscnt 0x0
	v_mul_f32_e32 v1, v127, v121
	v_mul_f32_e32 v157, v126, v121
	s_delay_alu instid0(VALU_DEP_2) | instskip(NEXT) | instid1(VALU_DEP_2)
	v_fma_f32 v156, v126, v120, -v1
	v_fmac_f32_e32 v157, v127, v120
	global_load_b128 v[124:127], v[11:12], off offset:23936
	s_wait_loadcnt 0x0
	v_mul_f32_e32 v1, v129, v125
	v_mul_f32_e32 v140, v128, v125
	s_delay_alu instid0(VALU_DEP_2) | instskip(NEXT) | instid1(VALU_DEP_2)
	v_fma_f32 v141, v128, v124, -v1
	v_fmac_f32_e32 v140, v129, v124
	ds_load_2addr_b64 v[128:131], v194 offset0:64 offset1:184
	s_clause 0x1
	global_load_b64 v[210:211], v[11:12], off offset:19152
	global_load_b64 v[195:196], v[11:12], off offset:23952
	s_wait_dscnt 0x0
	v_mul_f32_e32 v1, v131, v198
	v_mul_f32_e32 v172, v130, v198
	s_delay_alu instid0(VALU_DEP_2) | instskip(NEXT) | instid1(VALU_DEP_2)
	v_fma_f32 v171, v130, v197, -v1
	v_dual_mul_f32 v1, v129, v127 :: v_dual_fmac_f32 v172, v131, v197
	s_delay_alu instid0(VALU_DEP_1) | instskip(SKIP_1) | instid1(VALU_DEP_1)
	v_fma_f32 v142, v128, v126, -v1
	v_mul_f32_e32 v1, v128, v127
	v_fmac_f32_e32 v1, v129, v126
	ds_load_2addr_b64 v[128:131], v180 offset0:32 offset1:152
	s_wait_loadcnt_dscnt 0x100
	v_mul_f32_e32 v11, v129, v211
	s_wait_loadcnt 0x0
	v_dual_mul_f32 v12, v128, v211 :: v_dual_mul_f32 v143, v130, v196
	s_delay_alu instid0(VALU_DEP_2) | instskip(SKIP_1) | instid1(VALU_DEP_3)
	v_fma_f32 v11, v128, v210, -v11
	v_mul_f32_e32 v128, v131, v196
	v_dual_fmac_f32 v12, v129, v210 :: v_dual_fmac_f32 v143, v131, v195
	s_delay_alu instid0(VALU_DEP_2) | instskip(SKIP_4) | instid1(VALU_DEP_2)
	v_fma_f32 v145, v130, v195, -v128
	ds_load_2addr_b64 v[128:131], v255 offset0:96 offset1:216
	s_wait_dscnt 0x0
	v_mul_f32_e32 v160, v131, v49
	v_mul_f32_e32 v174, v130, v49
	v_fma_f32 v173, v130, v48, -v160
	ds_load_2addr_b64 v[160:163], v208 offset1:120
	v_fmac_f32_e32 v174, v131, v48
	s_wait_dscnt 0x0
	v_add_f32_e32 v130, v160, v15
	s_delay_alu instid0(VALU_DEP_1) | instskip(SKIP_1) | instid1(VALU_DEP_1)
	v_add_f32_e32 v168, v130, v165
	v_add_f32_e32 v130, v161, v164
	v_dual_add_f32 v169, v130, v166 :: v_dual_add_f32 v130, v173, v167
	s_delay_alu instid0(VALU_DEP_1) | instskip(SKIP_1) | instid1(VALU_DEP_1)
	v_add_f32_e32 v175, v130, v171
	v_add_f32_e32 v130, v174, v170
	v_dual_add_f32 v179, v130, v172 :: v_dual_add_f32 v130, v168, v175
	v_sub_f32_e32 v168, v168, v175
	v_sub_f32_e32 v175, v164, v166
	v_add_f32_e32 v164, v164, v166
	s_delay_alu instid0(VALU_DEP_4) | instskip(SKIP_1) | instid1(VALU_DEP_3)
	v_dual_add_f32 v166, v170, v172 :: v_dual_add_f32 v131, v169, v179
	v_sub_f32_e32 v169, v169, v179
	v_fma_f32 v164, -0.5, v164, v161
	s_delay_alu instid0(VALU_DEP_3)
	v_fmac_f32_e32 v174, -0.5, v166
	v_add_f32_e32 v166, v167, v171
	v_sub_f32_e32 v167, v167, v171
	v_add_f32_e32 v171, v15, v165
	v_sub_f32_e32 v15, v15, v165
	v_sub_f32_e32 v165, v170, v172
	s_delay_alu instid0(VALU_DEP_4) | instskip(SKIP_1) | instid1(VALU_DEP_2)
	v_dual_fmac_f32 v173, -0.5, v166 :: v_dual_fmamk_f32 v166, v167, 0xbf5db3d7, v174
	v_fmac_f32_e32 v174, 0x3f5db3d7, v167
	v_fmamk_f32 v170, v165, 0x3f5db3d7, v173
	v_fmac_f32_e32 v173, 0xbf5db3d7, v165
	s_delay_alu instid0(VALU_DEP_4) | instskip(NEXT) | instid1(VALU_DEP_4)
	v_mul_f32_e32 v172, 0x3f5db3d7, v166
	v_mul_f32_e32 v165, -0.5, v174
	s_delay_alu instid0(VALU_DEP_4) | instskip(NEXT) | instid1(VALU_DEP_2)
	v_mul_f32_e32 v179, 0xbf5db3d7, v170
	v_dual_fmac_f32 v172, 0.5, v170 :: v_dual_fmac_f32 v165, 0xbf5db3d7, v173
	s_delay_alu instid0(VALU_DEP_2) | instskip(SKIP_3) | instid1(VALU_DEP_3)
	v_fmac_f32_e32 v179, 0.5, v166
	v_fma_f32 v166, -0.5, v171, v160
	v_fmamk_f32 v171, v15, 0xbf5db3d7, v164
	v_dual_fmac_f32 v164, 0x3f5db3d7, v15 :: v_dual_mul_f32 v15, -0.5, v173
	v_fmamk_f32 v170, v175, 0x3f5db3d7, v166
	v_fmac_f32_e32 v166, 0xbf5db3d7, v175
	s_delay_alu instid0(VALU_DEP_4) | instskip(NEXT) | instid1(VALU_DEP_4)
	v_add_f32_e32 v161, v171, v179
	v_fmac_f32_e32 v15, 0x3f5db3d7, v174
	s_delay_alu instid0(VALU_DEP_4) | instskip(SKIP_1) | instid1(VALU_DEP_3)
	v_dual_add_f32 v173, v164, v165 :: v_dual_add_f32 v160, v170, v172
	v_dual_sub_f32 v170, v170, v172 :: v_dual_sub_f32 v171, v171, v179
	v_add_f32_e32 v172, v166, v15
	v_dual_sub_f32 v174, v166, v15 :: v_dual_sub_f32 v175, v164, v165
	ds_load_2addr_b64 v[164:167], v216 offset0:112 offset1:232
	ds_store_b64 v208, v[160:161] offset:4800
	ds_store_b64 v208, v[172:173] offset:9600
	;; [unrolled: 1-line block ×5, first 2 shown]
	v_dual_add_f32 v160, v163, v6 :: v_dual_add_f32 v15, v162, v7
	s_delay_alu instid0(VALU_DEP_1) | instskip(SKIP_1) | instid1(VALU_DEP_3)
	v_add_f32_e32 v168, v160, v8
	v_add_f32_e32 v160, v147, v176
	;; [unrolled: 1-line block ×3, first 2 shown]
	s_delay_alu instid0(VALU_DEP_2) | instskip(NEXT) | instid1(VALU_DEP_1)
	v_dual_add_f32 v169, v160, v177 :: v_dual_add_f32 v160, v2, v159
	v_add_f32_e32 v170, v160, v178
	s_delay_alu instid0(VALU_DEP_1)
	v_dual_add_f32 v160, v15, v169 :: v_dual_add_f32 v161, v168, v170
	ds_store_2addr_b64 v208, v[130:131], v[160:161] offset1:120
	v_dual_sub_f32 v130, v15, v169 :: v_dual_sub_f32 v131, v168, v170
	v_add_f32_e32 v15, v6, v8
	v_add_f32_e32 v161, v144, v9
	v_dual_add_f32 v168, v148, v10 :: v_dual_sub_f32 v169, v9, v151
	ds_store_b64 v208, v[130:131] offset:15360
	v_sub_f32_e32 v130, v6, v8
	v_add_f32_e32 v6, v159, v178
	v_add_f32_e32 v8, v7, v158
	v_sub_f32_e32 v131, v7, v158
	v_dual_sub_f32 v158, v159, v178 :: v_dual_fmac_f32 v163, -0.5, v15
	s_delay_alu instid0(VALU_DEP_4) | instskip(SKIP_4) | instid1(VALU_DEP_4)
	v_fmac_f32_e32 v2, -0.5, v6
	v_add_f32_e32 v6, v176, v177
	v_sub_f32_e32 v15, v176, v177
	v_fma_f32 v162, -0.5, v8, v162
	v_add_f32_e32 v8, v4, v5
	v_dual_sub_f32 v176, v154, v155 :: v_dual_fmac_f32 v147, -0.5, v6
	s_delay_alu instid0(VALU_DEP_4) | instskip(SKIP_1) | instid1(VALU_DEP_3)
	v_dual_fmamk_f32 v6, v15, 0xbf5db3d7, v2 :: v_dual_sub_f32 v177, v4, v5
	s_wait_dscnt 0x7
	v_fma_f32 v174, -0.5, v8, v164
	v_add_f32_e32 v8, v154, v155
	v_fmamk_f32 v7, v158, 0x3f5db3d7, v147
	v_mul_f32_e32 v159, 0x3f5db3d7, v6
	v_fmac_f32_e32 v147, 0xbf5db3d7, v158
	v_fmac_f32_e32 v2, 0x3f5db3d7, v15
	v_fma_f32 v175, -0.5, v8, v165
	v_mul_f32_e32 v160, 0xbf5db3d7, v7
	v_dual_fmac_f32 v159, 0.5, v7 :: v_dual_fmamk_f32 v172, v130, 0x3f5db3d7, v162
	v_fmamk_f32 v173, v131, 0xbf5db3d7, v163
	v_fmamk_f32 v178, v176, 0x3f5db3d7, v174
	s_delay_alu instid0(VALU_DEP_4) | instskip(SKIP_4) | instid1(VALU_DEP_4)
	v_fmac_f32_e32 v160, 0.5, v6
	v_add_f32_e32 v6, v9, v151
	v_dual_fmamk_f32 v179, v177, 0xbf5db3d7, v175 :: v_dual_fmac_f32 v162, 0xbf5db3d7, v130
	v_fmac_f32_e32 v163, 0x3f5db3d7, v131
	v_fmac_f32_e32 v174, 0xbf5db3d7, v176
	v_fmac_f32_e32 v144, -0.5, v6
	v_add_f32_e32 v6, v10, v152
	v_dual_sub_f32 v10, v10, v152 :: v_dual_fmac_f32 v175, 0x3f5db3d7, v177
	s_delay_alu instid0(VALU_DEP_2) | instskip(NEXT) | instid1(VALU_DEP_2)
	v_fmac_f32_e32 v148, -0.5, v6
	v_fmamk_f32 v7, v10, 0x3f5db3d7, v144
	v_fmac_f32_e32 v144, 0xbf5db3d7, v10
	v_mul_f32_e32 v10, -0.5, v147
	s_delay_alu instid0(VALU_DEP_3) | instskip(SKIP_1) | instid1(VALU_DEP_3)
	v_dual_fmamk_f32 v6, v169, 0xbf5db3d7, v148 :: v_dual_mul_f32 v171, 0xbf5db3d7, v7
	v_fmac_f32_e32 v148, 0x3f5db3d7, v169
	v_fmac_f32_e32 v10, 0x3f5db3d7, v2
	v_mul_f32_e32 v2, -0.5, v2
	s_delay_alu instid0(VALU_DEP_4)
	v_mul_f32_e32 v170, 0x3f5db3d7, v6
	v_fmac_f32_e32 v171, 0.5, v6
	v_mul_f32_e32 v15, -0.5, v144
	v_mul_f32_e32 v130, -0.5, v148
	v_add_f32_e32 v6, v172, v159
	v_dual_fmac_f32 v170, 0.5, v7 :: v_dual_add_f32 v7, v173, v160
	v_add_f32_e32 v9, v179, v171
	v_fmac_f32_e32 v2, 0xbf5db3d7, v147
	s_delay_alu instid0(VALU_DEP_3)
	v_dual_fmac_f32 v15, 0x3f5db3d7, v148 :: v_dual_add_f32 v8, v178, v170
	v_fmac_f32_e32 v130, 0xbf5db3d7, v144
	ds_store_2addr_b64 v185, v[6:7], v[8:9] offset0:80 offset1:200
	v_add_f32_e32 v6, v162, v10
	v_dual_add_f32 v7, v163, v2 :: v_dual_add_f32 v8, v174, v15
	v_add_f32_e32 v9, v175, v130
	ds_store_2addr_b64 v13, v[6:7], v[8:9] offset0:40 offset1:160
	v_dual_sub_f32 v6, v172, v159 :: v_dual_sub_f32 v7, v173, v160
	v_dual_sub_f32 v8, v178, v170 :: v_dual_sub_f32 v9, v179, v171
	v_add_nc_u32_e32 v13, 0x4c00, v208
	ds_store_2addr_b64 v13, v[6:7], v[8:9] offset0:88 offset1:208
	v_sub_f32_e32 v7, v163, v2
	v_sub_f32_e32 v6, v162, v10
	v_dual_sub_f32 v8, v174, v15 :: v_dual_sub_f32 v9, v175, v130
	v_add_f32_e32 v2, v164, v4
	v_add_f32_e32 v4, v165, v154
	;; [unrolled: 1-line block ×3, first 2 shown]
	ds_store_2addr_b64 v201, v[6:7], v[8:9] offset0:48 offset1:168
	v_add_f32_e32 v2, v2, v5
	v_add_f32_e32 v8, v4, v155
	v_dual_add_f32 v4, v166, v0 :: v_dual_add_f32 v9, v161, v151
	v_mov_b32_e32 v201, v216
	s_delay_alu instid0(VALU_DEP_3) | instskip(NEXT) | instid1(VALU_DEP_3)
	v_add_f32_e32 v5, v8, v10
	v_add_f32_e32 v15, v4, v150
	;; [unrolled: 1-line block ×3, first 2 shown]
	s_delay_alu instid0(VALU_DEP_1) | instskip(SKIP_1) | instid1(VALU_DEP_1)
	v_add_f32_e32 v130, v4, v153
	v_add_f32_e32 v4, v149, v156
	v_dual_add_f32 v131, v4, v11 :: v_dual_add_f32 v4, v3, v157
	s_delay_alu instid0(VALU_DEP_1) | instskip(NEXT) | instid1(VALU_DEP_2)
	v_add_f32_e32 v6, v15, v131
	v_add_f32_e32 v144, v4, v12
	;; [unrolled: 1-line block ×3, first 2 shown]
	s_delay_alu instid0(VALU_DEP_2)
	v_add_f32_e32 v7, v130, v144
	ds_store_2addr_b64 v216, v[4:5], v[6:7] offset0:112 offset1:232
	v_sub_f32_e32 v4, v2, v9
	v_add_f32_e32 v2, v0, v150
	v_sub_f32_e32 v5, v8, v10
	v_add_f32_e32 v10, v156, v11
	v_sub_f32_e32 v0, v0, v150
	v_sub_f32_e32 v6, v15, v131
	v_fma_f32 v8, -0.5, v2, v166
	s_delay_alu instid0(VALU_DEP_4) | instskip(SKIP_3) | instid1(VALU_DEP_4)
	v_dual_sub_f32 v2, v146, v153 :: v_dual_fmac_f32 v149, -0.5, v10
	v_add_f32_e32 v10, v157, v12
	v_sub_f32_e32 v12, v157, v12
	v_sub_f32_e32 v7, v130, v144
	v_fmamk_f32 v9, v2, 0x3f5db3d7, v8
	v_fmac_f32_e32 v8, 0xbf5db3d7, v2
	v_dual_add_f32 v2, v146, v153 :: v_dual_fmac_f32 v3, -0.5, v10
	v_fmamk_f32 v10, v12, 0x3f5db3d7, v149
	v_fmac_f32_e32 v149, 0xbf5db3d7, v12
	s_delay_alu instid0(VALU_DEP_3) | instskip(NEXT) | instid1(VALU_DEP_1)
	v_dual_fmac_f32 v167, -0.5, v2 :: v_dual_sub_f32 v2, v156, v11
	v_dual_mul_f32 v12, -0.5, v149 :: v_dual_fmamk_f32 v11, v0, 0xbf5db3d7, v167
	v_fmac_f32_e32 v167, 0x3f5db3d7, v0
	s_delay_alu instid0(VALU_DEP_3) | instskip(SKIP_1) | instid1(VALU_DEP_1)
	v_fmamk_f32 v0, v2, 0xbf5db3d7, v3
	v_fmac_f32_e32 v3, 0x3f5db3d7, v2
	v_mul_f32_e32 v15, -0.5, v3
	v_fmac_f32_e32 v12, 0x3f5db3d7, v3
	s_delay_alu instid0(VALU_DEP_1) | instskip(NEXT) | instid1(VALU_DEP_1)
	v_dual_fmac_f32 v15, 0xbf5db3d7, v149 :: v_dual_add_f32 v2, v8, v12
	v_add_f32_e32 v3, v167, v15
	ds_store_b64 v208, v[2:3] offset:12480
	v_dual_sub_f32 v3, v167, v15 :: v_dual_add_nc_u32 v2, 0x3c00, v208
	ds_store_2addr_b64 v2, v[4:5], v[6:7] offset0:120 offset1:240
	v_mul_f32_e32 v6, 0x3f5db3d7, v0
	v_dual_mul_f32 v7, 0xbf5db3d7, v10 :: v_dual_mov_b32 v16, v2
	v_sub_f32_e32 v2, v8, v12
	s_delay_alu instid0(VALU_DEP_2) | instskip(SKIP_2) | instid1(VALU_DEP_3)
	v_dual_fmac_f32 v6, 0.5, v10 :: v_dual_fmac_f32 v7, 0.5, v0
	v_add_f32_e32 v0, v128, v138
	v_sub_f32_e32 v10, v138, v142
	v_dual_sub_f32 v4, v9, v6 :: v_dual_sub_f32 v5, v11, v7
	ds_store_b64 v208, v[2:3] offset:26880
	ds_store_b64 v208, v[4:5] offset:22080
	v_add_f32_e32 v4, v0, v142
	v_add_f32_e32 v0, v129, v139
	v_dual_add_f32 v6, v9, v6 :: v_dual_add_f32 v7, v11, v7
	s_delay_alu instid0(VALU_DEP_2) | instskip(SKIP_1) | instid1(VALU_DEP_1)
	v_add_f32_e32 v5, v0, v1
	v_add_f32_e32 v0, v136, v141
	;; [unrolled: 1-line block ×4, first 2 shown]
	s_delay_alu instid0(VALU_DEP_2) | instskip(NEXT) | instid1(VALU_DEP_2)
	v_add_f32_e32 v2, v4, v8
	v_dual_add_f32 v9, v0, v143 :: v_dual_add_f32 v0, v139, v1
	s_delay_alu instid0(VALU_DEP_1) | instskip(NEXT) | instid1(VALU_DEP_2)
	v_dual_sub_f32 v4, v4, v8 :: v_dual_add_f32 v3, v5, v9
	v_dual_fmac_f32 v129, -0.5, v0 :: v_dual_add_f32 v0, v140, v143
	v_sub_f32_e32 v5, v5, v9
	ds_store_b64 v208, v[2:3] offset:3840
	v_sub_f32_e32 v3, v141, v145
	v_dual_fmac_f32 v137, -0.5, v0 :: v_dual_add_f32 v0, v141, v145
	v_dual_sub_f32 v2, v139, v1 :: v_dual_add_f32 v1, v138, v142
	v_fmamk_f32 v131, v10, 0xbf5db3d7, v129
	s_delay_alu instid0(VALU_DEP_3) | instskip(NEXT) | instid1(VALU_DEP_4)
	v_dual_fmac_f32 v129, 0x3f5db3d7, v10 :: v_dual_fmac_f32 v136, -0.5, v0
	v_fmamk_f32 v0, v3, 0xbf5db3d7, v137
	v_fmac_f32_e32 v137, 0x3f5db3d7, v3
	v_sub_f32_e32 v11, v140, v143
	v_fma_f32 v128, -0.5, v1, v128
	s_delay_alu instid0(VALU_DEP_2) | instskip(NEXT) | instid1(VALU_DEP_2)
	v_dual_mul_f32 v15, 0x3f5db3d7, v0 :: v_dual_fmamk_f32 v12, v11, 0x3f5db3d7, v136
	v_fmamk_f32 v130, v2, 0x3f5db3d7, v128
	v_fmac_f32_e32 v136, 0xbf5db3d7, v11
	s_delay_alu instid0(VALU_DEP_3) | instskip(SKIP_1) | instid1(VALU_DEP_3)
	v_dual_fmac_f32 v128, 0xbf5db3d7, v2 :: v_dual_fmac_f32 v15, 0.5, v12
	v_mul_f32_e32 v12, 0xbf5db3d7, v12
	v_mul_f32_e32 v2, -0.5, v136
	s_delay_alu instid0(VALU_DEP_2) | instskip(NEXT) | instid1(VALU_DEP_4)
	v_fmac_f32_e32 v12, 0.5, v0
	v_add_f32_e32 v0, v130, v15
	s_delay_alu instid0(VALU_DEP_2) | instskip(SKIP_3) | instid1(VALU_DEP_2)
	v_dual_fmac_f32 v2, 0x3f5db3d7, v137 :: v_dual_add_f32 v1, v131, v12
	ds_store_2addr_b64 v192, v[6:7], v[0:1] offset0:64 offset1:184
	v_mul_f32_e32 v0, -0.5, v137
	v_dual_sub_f32 v6, v130, v15 :: v_dual_sub_f32 v7, v131, v12
	v_fmac_f32_e32 v0, 0xbf5db3d7, v136
	s_delay_alu instid0(VALU_DEP_1)
	v_add_f32_e32 v1, v129, v0
	v_dual_sub_f32 v3, v129, v0 :: v_dual_add_f32 v0, v128, v2
	v_sub_f32_e32 v2, v128, v2
	ds_store_b64 v208, v[0:1] offset:13440
	ds_store_b64 v208, v[4:5] offset:18240
	ds_store_b64 v208, v[6:7] offset:23040
	ds_store_b64 v208, v[2:3] offset:27840
	global_wb scope:SCOPE_SE
	s_wait_dscnt 0x0
	s_barrier_signal -1
	s_barrier_wait -1
	global_inv scope:SCOPE_SE
	s_clause 0x2
	global_load_b64 v[4:5], v208, s[8:9] offset:28800
	global_load_b64 v[138:139], v208, s[2:3] offset:23040
	;; [unrolled: 1-line block ×3, first 2 shown]
	ds_load_2addr_b64 v[0:3], v208 offset1:120
	s_clause 0xa
	global_load_b64 v[10:11], v208, s[2:3] offset:11520
	global_load_b64 v[142:143], v208, s[2:3] offset:2880
	;; [unrolled: 1-line block ×11, first 2 shown]
	s_wait_loadcnt_dscnt 0xd00
	v_mul_f32_e32 v6, v1, v5
	v_mul_f32_e32 v7, v0, v5
	s_delay_alu instid0(VALU_DEP_2) | instskip(NEXT) | instid1(VALU_DEP_2)
	v_fma_f32 v6, v0, v4, -v6
	v_fmac_f32_e32 v7, v1, v4
	global_load_b64 v[0:1], v208, s[2:3] offset:960
	ds_store_b64 v208, v[6:7]
	global_load_b64 v[6:7], v208, s[2:3] offset:5760
	s_wait_loadcnt 0x1
	v_mul_f32_e32 v4, v3, v1
	v_mul_f32_e32 v5, v2, v1
	s_delay_alu instid0(VALU_DEP_2) | instskip(NEXT) | instid1(VALU_DEP_2)
	v_fma_f32 v4, v2, v0, -v4
	v_fmac_f32_e32 v5, v3, v0
	ds_load_2addr_b64 v[0:3], v185 offset0:80 offset1:200
	s_wait_loadcnt_dscnt 0x0
	v_mul_f32_e32 v8, v1, v7
	v_mul_f32_e32 v9, v0, v7
	s_delay_alu instid0(VALU_DEP_2) | instskip(NEXT) | instid1(VALU_DEP_2)
	v_fma_f32 v8, v0, v6, -v8
	v_fmac_f32_e32 v9, v1, v6
	global_load_b64 v[0:1], v208, s[2:3] offset:6720
	s_wait_loadcnt 0x0
	v_mul_f32_e32 v6, v3, v1
	v_mul_f32_e32 v7, v2, v1
	s_delay_alu instid0(VALU_DEP_2) | instskip(NEXT) | instid1(VALU_DEP_2)
	v_fma_f32 v6, v2, v0, -v6
	v_fmac_f32_e32 v7, v3, v0
	ds_load_2addr_b64 v[0:3], v186 offset0:32 offset1:152
	s_wait_dscnt 0x0
	v_mul_f32_e32 v12, v1, v11
	v_mul_f32_e32 v129, v0, v11
	s_delay_alu instid0(VALU_DEP_2) | instskip(NEXT) | instid1(VALU_DEP_2)
	v_fma_f32 v128, v0, v10, -v12
	v_fmac_f32_e32 v129, v1, v10
	global_load_b64 v[0:1], v208, s[2:3] offset:12480
	s_wait_loadcnt 0x0
	v_mul_f32_e32 v10, v3, v1
	v_mul_f32_e32 v11, v2, v1
	s_delay_alu instid0(VALU_DEP_2) | instskip(NEXT) | instid1(VALU_DEP_2)
	v_fma_f32 v10, v2, v0, -v10
	v_fmac_f32_e32 v11, v3, v0
	ds_load_2addr_b64 v[0:3], v203 offset0:112 offset1:232
	s_wait_dscnt 0x0
	;; [unrolled: 14-line block ×13, first 2 shown]
	v_mul_f32_e32 v12, v1, v179
	v_mul_f32_e32 v181, v0, v179
	s_delay_alu instid0(VALU_DEP_2) | instskip(NEXT) | instid1(VALU_DEP_2)
	v_fma_f32 v180, v0, v178, -v12
	v_fmac_f32_e32 v181, v1, v178
	global_load_b64 v[0:1], v208, s[2:3] offset:27840
	s_mov_b32 s2, 0x789abcdf
	s_mov_b32 s3, 0x3f323456
	s_wait_loadcnt 0x0
	v_mul_f32_e32 v12, v3, v1
	v_mul_f32_e32 v179, v2, v1
	s_delay_alu instid0(VALU_DEP_2) | instskip(NEXT) | instid1(VALU_DEP_2)
	v_fma_f32 v178, v2, v0, -v12
	v_fmac_f32_e32 v179, v3, v0
	v_add_nc_u32_e32 v0, 0x800, v208
	ds_store_2addr_b64 v0, v[144:145], v[148:149] offset0:104 offset1:224
	v_add_nc_u32_e32 v0, 0x2000, v208
	ds_store_2addr_b64 v0, v[152:153], v[156:157] offset0:56 offset1:176
	;; [unrolled: 2-line block ×4, first 2 shown]
	ds_store_2addr_b64 v132, v[6:7], v[150:151] offset0:72 offset1:192
	ds_store_2addr_b64 v133, v[10:11], v[158:159] offset0:24 offset1:144
	;; [unrolled: 1-line block ×3, first 2 shown]
	v_add_nc_u32_e32 v0, 0x5400, v208
	ds_store_2addr_b64 v0, v[170:171], v[140:141] offset0:72 offset1:192
	ds_store_2addr_b64 v135, v[138:139], v[174:175] offset0:56 offset1:176
	;; [unrolled: 1-line block ×7, first 2 shown]
	ds_store_b64 v208, v[178:179] offset:27840
	global_wb scope:SCOPE_SE
	s_wait_dscnt 0x0
	s_barrier_signal -1
	s_barrier_wait -1
	global_inv scope:SCOPE_SE
	ds_load_2addr_b64 v[152:155], v185 offset0:80 offset1:200
	ds_load_2addr_b64 v[156:159], v186 offset0:32 offset1:152
	;; [unrolled: 1-line block ×9, first 2 shown]
	ds_load_2addr_b64 v[168:171], v208 offset1:120
	ds_load_2addr_b64 v[148:151], v255 offset0:96 offset1:216
	ds_load_2addr_b64 v[180:183], v217 offset0:48 offset1:168
	ds_load_2addr_b64 v[184:187], v209 offset0:128 offset1:248
	ds_load_2addr_b64 v[176:179], v14 offset0:80 offset1:200
	ds_load_2addr_b64 v[172:175], v18 offset0:32 offset1:152
	global_wb scope:SCOPE_SE
	s_wait_dscnt 0x0
	s_barrier_signal -1
	s_barrier_wait -1
	global_inv scope:SCOPE_SE
	v_dual_mov_b32 v201, v14 :: v_dual_sub_f32 v0, v152, v156
	v_dual_sub_f32 v1, v160, v164 :: v_dual_sub_f32 v16, v139, v147
	v_dual_sub_f32 v15, v135, v143 :: v_dual_sub_f32 v224, v134, v142
	v_sub_f32_e32 v222, v138, v146
	s_delay_alu instid0(VALU_DEP_3)
	v_add_f32_e32 v194, v0, v1
	v_sub_f32_e32 v0, v153, v157
	v_sub_f32_e32 v1, v161, v165
	v_add_f32_e32 v7, v131, v135
	v_dual_sub_f32 v5, v153, v161 :: v_dual_sub_f32 v4, v152, v160
	v_sub_f32_e32 v12, v157, v165
	s_delay_alu instid0(VALU_DEP_4)
	v_add_f32_e32 v216, v0, v1
	v_sub_f32_e32 v0, v134, v138
	v_sub_f32_e32 v1, v142, v146
	v_add_f32_e32 v9, v7, v139
	v_add_f32_e32 v7, v157, v165
	v_sub_f32_e32 v203, v156, v164
	s_delay_alu instid0(VALU_DEP_4) | instskip(SKIP_4) | instid1(VALU_DEP_3)
	v_dual_add_f32 v13, v155, v163 :: v_dual_add_f32 v192, v0, v1
	v_sub_f32_e32 v0, v135, v139
	v_sub_f32_e32 v1, v143, v147
	v_fma_f32 v7, -0.5, v7, v169
	v_dual_add_f32 v9, v9, v147 :: v_dual_sub_f32 v14, v162, v166
	v_add_f32_e32 v218, v0, v1
	v_add_f32_e32 v0, v139, v147
	s_delay_alu instid0(VALU_DEP_3) | instskip(NEXT) | instid1(VALU_DEP_2)
	v_add_f32_e32 v202, v9, v143
	v_fma_f32 v220, -0.5, v0, v131
	v_add_f32_e32 v0, v138, v146
	s_delay_alu instid0(VALU_DEP_1) | instskip(NEXT) | instid1(VALU_DEP_3)
	v_fma_f32 v1, -0.5, v0, v130
	v_fmamk_f32 v0, v224, 0x3f737871, v220
	v_fmac_f32_e32 v220, 0xbf737871, v224
	s_delay_alu instid0(VALU_DEP_3) | instskip(NEXT) | instid1(VALU_DEP_3)
	v_fmamk_f32 v2, v15, 0xbf737871, v1
	v_fmac_f32_e32 v0, 0x3f167918, v222
	v_fmac_f32_e32 v1, 0x3f737871, v15
	s_delay_alu instid0(VALU_DEP_4) | instskip(NEXT) | instid1(VALU_DEP_4)
	v_fmac_f32_e32 v220, 0xbf167918, v222
	v_fmac_f32_e32 v2, 0xbf167918, v16
	s_delay_alu instid0(VALU_DEP_4) | instskip(NEXT) | instid1(VALU_DEP_4)
	;; [unrolled: 3-line block ×4, first 2 shown]
	v_mul_f32_e32 v3, 0xbf167918, v0
	v_fmac_f32_e32 v1, 0x3e9e377a, v192
	s_delay_alu instid0(VALU_DEP_3) | instskip(NEXT) | instid1(VALU_DEP_3)
	v_mul_f32_e32 v226, 0x3f167918, v2
	v_dual_fmac_f32 v3, 0x3f4f1bbd, v2 :: v_dual_add_f32 v2, v169, v153
	s_delay_alu instid0(VALU_DEP_2) | instskip(SKIP_1) | instid1(VALU_DEP_3)
	v_fmac_f32_e32 v226, 0x3f4f1bbd, v0
	v_add_f32_e32 v0, v168, v152
	v_add_f32_e32 v6, v2, v157
	s_delay_alu instid0(VALU_DEP_2) | instskip(NEXT) | instid1(VALU_DEP_2)
	v_add_f32_e32 v0, v0, v156
	v_add_f32_e32 v8, v6, v165
	;; [unrolled: 1-line block ×3, first 2 shown]
	s_delay_alu instid0(VALU_DEP_3) | instskip(NEXT) | instid1(VALU_DEP_2)
	v_add_f32_e32 v0, v0, v164
	v_dual_add_f32 v17, v8, v161 :: v_dual_add_f32 v6, v6, v138
	s_delay_alu instid0(VALU_DEP_2) | instskip(SKIP_1) | instid1(VALU_DEP_3)
	v_add_f32_e32 v193, v0, v160
	v_add_f32_e32 v0, v156, v164
	;; [unrolled: 1-line block ×3, first 2 shown]
	s_delay_alu instid0(VALU_DEP_4) | instskip(SKIP_1) | instid1(VALU_DEP_4)
	v_dual_fmamk_f32 v6, v4, 0x3f737871, v7 :: v_dual_add_f32 v9, v17, v202
	v_fmac_f32_e32 v7, 0xbf737871, v4
	v_fma_f32 v0, -0.5, v0, v168
	s_delay_alu instid0(VALU_DEP_3) | instskip(NEXT) | instid1(VALU_DEP_3)
	v_dual_add_f32 v19, v10, v142 :: v_dual_fmac_f32 v6, 0x3f167918, v203
	v_fmac_f32_e32 v7, 0xbf167918, v203
	s_delay_alu instid0(VALU_DEP_3) | instskip(NEXT) | instid1(VALU_DEP_3)
	v_fmamk_f32 v2, v5, 0xbf737871, v0
	v_add_f32_e32 v8, v193, v19
	s_delay_alu instid0(VALU_DEP_4) | instskip(SKIP_2) | instid1(VALU_DEP_3)
	v_fmac_f32_e32 v6, 0x3e9e377a, v216
	v_fmac_f32_e32 v0, 0x3f737871, v5
	;; [unrolled: 1-line block ×3, first 2 shown]
	v_dual_fmac_f32 v2, 0xbf167918, v12 :: v_dual_add_f32 v11, v6, v226
	s_delay_alu instid0(VALU_DEP_3) | instskip(NEXT) | instid1(VALU_DEP_2)
	v_fmac_f32_e32 v0, 0x3f167918, v12
	v_fmac_f32_e32 v2, 0x3e9e377a, v194
	s_delay_alu instid0(VALU_DEP_2) | instskip(NEXT) | instid1(VALU_DEP_2)
	v_fmac_f32_e32 v0, 0x3e9e377a, v194
	v_add_f32_e32 v10, v2, v3
	ds_store_b128 v219, v[8:11]
	v_sub_f32_e32 v8, v156, v152
	v_sub_f32_e32 v9, v164, v160
	v_dual_sub_f32 v11, v147, v143 :: v_dual_add_nc_u32 v164, 0x1400, v208
	s_delay_alu instid0(VALU_DEP_2) | instskip(SKIP_1) | instid1(VALU_DEP_1)
	v_add_f32_e32 v8, v8, v9
	v_add_f32_e32 v9, v152, v160
	v_fma_f32 v152, -0.5, v9, v168
	v_sub_f32_e32 v9, v165, v161
	v_add_nc_u32_e32 v165, 0x2c00, v208
	s_delay_alu instid0(VALU_DEP_3) | instskip(SKIP_2) | instid1(VALU_DEP_3)
	v_fmamk_f32 v156, v12, 0x3f737871, v152
	v_fmac_f32_e32 v152, 0xbf737871, v12
	v_mul_f32_e32 v12, 0xbf4f1bbd, v220
	v_fmac_f32_e32 v156, 0xbf167918, v5
	s_delay_alu instid0(VALU_DEP_3) | instskip(SKIP_1) | instid1(VALU_DEP_4)
	v_fmac_f32_e32 v152, 0x3f167918, v5
	v_mul_f32_e32 v5, 0xbf167918, v220
	v_fmac_f32_e32 v12, 0x3f167918, v1
	s_delay_alu instid0(VALU_DEP_4) | instskip(NEXT) | instid1(VALU_DEP_4)
	v_fmac_f32_e32 v156, 0x3e9e377a, v8
	v_fmac_f32_e32 v152, 0x3e9e377a, v8
	v_sub_f32_e32 v8, v157, v153
	v_fmac_f32_e32 v5, 0xbf4f1bbd, v1
	v_sub_f32_e32 v1, v2, v3
	v_sub_f32_e32 v2, v6, v226
	v_add_f32_e32 v6, v159, v167
	v_add_f32_e32 v8, v8, v9
	v_add_f32_e32 v9, v153, v161
	s_delay_alu instid0(VALU_DEP_3) | instskip(NEXT) | instid1(VALU_DEP_2)
	v_fma_f32 v6, -0.5, v6, v171
	v_fma_f32 v153, -0.5, v9, v169
	v_dual_sub_f32 v9, v146, v142 :: v_dual_sub_f32 v146, v185, v177
	v_add_nc_u32_e32 v169, 0x1c00, v208
	s_delay_alu instid0(VALU_DEP_3) | instskip(SKIP_1) | instid1(VALU_DEP_2)
	v_fmamk_f32 v157, v203, 0xbf737871, v153
	v_fmac_f32_e32 v153, 0x3f737871, v203
	v_fmac_f32_e32 v157, 0x3f167918, v4
	s_delay_alu instid0(VALU_DEP_2) | instskip(NEXT) | instid1(VALU_DEP_2)
	v_fmac_f32_e32 v153, 0xbf167918, v4
	v_fmac_f32_e32 v157, 0x3e9e377a, v8
	s_delay_alu instid0(VALU_DEP_2) | instskip(NEXT) | instid1(VALU_DEP_1)
	v_dual_fmac_f32 v153, 0x3e9e377a, v8 :: v_dual_sub_f32 v8, v138, v134
	v_dual_add_f32 v8, v8, v9 :: v_dual_add_f32 v9, v134, v142
	v_sub_f32_e32 v142, v184, v176
	s_delay_alu instid0(VALU_DEP_2) | instskip(NEXT) | instid1(VALU_DEP_1)
	v_fma_f32 v9, -0.5, v9, v130
	v_fmamk_f32 v10, v16, 0x3f737871, v9
	v_dual_fmac_f32 v9, 0xbf737871, v16 :: v_dual_sub_f32 v16, v163, v167
	s_delay_alu instid0(VALU_DEP_2) | instskip(NEXT) | instid1(VALU_DEP_2)
	v_fmac_f32_e32 v10, 0xbf167918, v15
	v_fmac_f32_e32 v9, 0x3f167918, v15
	s_delay_alu instid0(VALU_DEP_2) | instskip(NEXT) | instid1(VALU_DEP_2)
	v_dual_sub_f32 v15, v166, v162 :: v_dual_fmac_f32 v10, 0x3e9e377a, v8
	v_dual_fmac_f32 v9, 0x3e9e377a, v8 :: v_dual_sub_f32 v8, v139, v135
	v_sub_f32_e32 v139, v180, v172
	s_delay_alu instid0(VALU_DEP_2) | instskip(SKIP_2) | instid1(VALU_DEP_2)
	v_add_f32_e32 v8, v8, v11
	v_add_f32_e32 v11, v135, v143
	v_sub_f32_e32 v143, v181, v173
	v_fma_f32 v11, -0.5, v11, v131
	s_delay_alu instid0(VALU_DEP_1) | instskip(SKIP_1) | instid1(VALU_DEP_2)
	v_fmamk_f32 v130, v222, 0xbf737871, v11
	v_fmac_f32_e32 v11, 0x3f737871, v222
	v_fmac_f32_e32 v130, 0x3f167918, v224
	s_delay_alu instid0(VALU_DEP_2) | instskip(NEXT) | instid1(VALU_DEP_2)
	v_fmac_f32_e32 v11, 0xbf167918, v224
	v_fmac_f32_e32 v130, 0x3e9e377a, v8
	s_delay_alu instid0(VALU_DEP_2) | instskip(NEXT) | instid1(VALU_DEP_2)
	v_fmac_f32_e32 v11, 0x3e9e377a, v8
	v_mul_f32_e32 v131, 0xbf737871, v130
	v_mul_f32_e32 v130, 0x3e9e377a, v130
	s_delay_alu instid0(VALU_DEP_3) | instskip(SKIP_1) | instid1(VALU_DEP_4)
	v_mul_f32_e32 v134, 0xbf737871, v11
	v_mul_f32_e32 v135, 0xbe9e377a, v11
	v_fmac_f32_e32 v131, 0x3e9e377a, v10
	s_delay_alu instid0(VALU_DEP_4) | instskip(NEXT) | instid1(VALU_DEP_4)
	v_fmac_f32_e32 v130, 0x3f737871, v10
	v_fmac_f32_e32 v134, 0xbe9e377a, v9
	s_delay_alu instid0(VALU_DEP_3) | instskip(NEXT) | instid1(VALU_DEP_3)
	v_dual_fmac_f32 v135, 0x3f737871, v9 :: v_dual_add_f32 v8, v156, v131
	v_add_f32_e32 v9, v157, v130
	s_delay_alu instid0(VALU_DEP_2)
	v_dual_add_f32 v10, v152, v134 :: v_dual_add_f32 v11, v153, v135
	v_dual_sub_f32 v3, v156, v131 :: v_dual_sub_f32 v4, v157, v130
	ds_store_b128 v219, v[8:11] offset:16
	v_sub_f32_e32 v10, v193, v19
	v_dual_sub_f32 v11, v17, v202 :: v_dual_add_f32 v8, v0, v5
	v_add_f32_e32 v9, v7, v12
	ds_store_b128 v219, v[1:4] offset:48
	v_sub_f32_e32 v1, v152, v134
	v_dual_sub_f32 v3, v0, v5 :: v_dual_sub_f32 v2, v153, v135
	v_sub_f32_e32 v4, v7, v12
	ds_store_b128 v219, v[8:11] offset:32
	v_add_f32_e32 v0, v170, v154
	v_sub_f32_e32 v8, v155, v159
	v_sub_f32_e32 v10, v155, v163
	ds_store_b128 v219, v[1:4] offset:64
	v_dual_add_f32 v1, v171, v155 :: v_dual_add_f32 v0, v0, v158
	v_add_f32_e32 v8, v8, v16
	v_add_f32_e32 v2, v158, v166
	s_delay_alu instid0(VALU_DEP_3) | instskip(NEXT) | instid1(VALU_DEP_4)
	v_dual_sub_f32 v12, v154, v162 :: v_dual_add_f32 v1, v1, v159
	v_add_f32_e32 v0, v0, v166
	v_sub_f32_e32 v4, v159, v167
	s_delay_alu instid0(VALU_DEP_4) | instskip(SKIP_1) | instid1(VALU_DEP_4)
	v_fma_f32 v153, -0.5, v2, v170
	v_sub_f32_e32 v3, v154, v158
	v_dual_add_f32 v1, v1, v167 :: v_dual_add_f32 v130, v0, v162
	v_dual_sub_f32 v0, v180, v184 :: v_dual_sub_f32 v5, v158, v154
	v_sub_f32_e32 v7, v158, v166
	s_delay_alu instid0(VALU_DEP_3)
	v_add_f32_e32 v131, v1, v163
	v_sub_f32_e32 v1, v172, v176
	v_sub_f32_e32 v9, v159, v155
	v_add_f32_e32 v11, v154, v162
	v_fmamk_f32 v154, v10, 0xbf737871, v153
	v_fmamk_f32 v155, v12, 0x3f737871, v6
	v_add_f32_e32 v16, v0, v1
	v_sub_f32_e32 v0, v181, v185
	v_dual_sub_f32 v1, v173, v177 :: v_dual_add_f32 v14, v3, v14
	v_fmac_f32_e32 v154, 0xbf167918, v4
	v_fmac_f32_e32 v155, 0x3f167918, v7
	s_delay_alu instid0(VALU_DEP_3) | instskip(SKIP_1) | instid1(VALU_DEP_3)
	v_dual_sub_f32 v19, v167, v163 :: v_dual_add_f32 v134, v0, v1
	v_add_f32_e32 v0, v185, v177
	v_dual_fmac_f32 v154, 0x3e9e377a, v14 :: v_dual_fmac_f32 v155, 0x3e9e377a, v8
	v_fmac_f32_e32 v171, -0.5, v13
	v_add_nc_u32_e32 v167, 0x400, v208
	s_delay_alu instid0(VALU_DEP_4) | instskip(SKIP_3) | instid1(VALU_DEP_3)
	v_fma_f32 v135, -0.5, v0, v149
	v_dual_add_f32 v0, v184, v176 :: v_dual_fmac_f32 v153, 0x3f737871, v10
	v_fmac_f32_e32 v6, 0xbf737871, v12
	v_add_nc_u32_e32 v166, 0x4000, v208
	v_fma_f32 v138, -0.5, v0, v148
	v_fmamk_f32 v0, v139, 0x3f737871, v135
	v_fmac_f32_e32 v135, 0xbf737871, v139
	v_fmac_f32_e32 v153, 0x3f167918, v4
	;; [unrolled: 1-line block ×3, first 2 shown]
	v_fmamk_f32 v1, v143, 0xbf737871, v138
	v_fmac_f32_e32 v0, 0x3f167918, v142
	v_fmac_f32_e32 v138, 0x3f737871, v143
	;; [unrolled: 1-line block ×7, first 2 shown]
	v_dual_fmac_f32 v135, 0x3e9e377a, v134 :: v_dual_sub_f32 v8, v133, v137
	s_delay_alu instid0(VALU_DEP_4) | instskip(NEXT) | instid1(VALU_DEP_4)
	v_fmac_f32_e32 v1, 0x3e9e377a, v16
	v_mul_f32_e32 v147, 0xbf167918, v0
	s_delay_alu instid0(VALU_DEP_4) | instskip(SKIP_4) | instid1(VALU_DEP_4)
	v_fmac_f32_e32 v138, 0x3e9e377a, v16
	v_sub_f32_e32 v16, v141, v145
	v_sub_f32_e32 v134, v182, v186
	v_mul_f32_e32 v152, 0x3f167918, v1
	v_fmac_f32_e32 v147, 0x3f4f1bbd, v1
	v_dual_add_f32 v1, v149, v181 :: v_dual_add_f32 v8, v8, v16
	s_delay_alu instid0(VALU_DEP_3) | instskip(NEXT) | instid1(VALU_DEP_2)
	v_fmac_f32_e32 v152, 0x3f4f1bbd, v0
	v_dual_add_f32 v0, v148, v180 :: v_dual_add_f32 v1, v1, v185
	s_delay_alu instid0(VALU_DEP_2) | instskip(NEXT) | instid1(VALU_DEP_2)
	v_dual_add_f32 v2, v154, v147 :: v_dual_add_f32 v3, v155, v152
	v_dual_add_f32 v0, v0, v184 :: v_dual_add_f32 v1, v1, v177
	s_delay_alu instid0(VALU_DEP_1) | instskip(NEXT) | instid1(VALU_DEP_1)
	v_dual_add_f32 v0, v0, v176 :: v_dual_add_f32 v157, v1, v173
	v_dual_add_f32 v156, v0, v172 :: v_dual_add_f32 v1, v131, v157
	s_delay_alu instid0(VALU_DEP_1)
	v_add_f32_e32 v0, v130, v156
	ds_store_b128 v221, v[0:3]
	v_add_f32_e32 v0, v5, v15
	v_fma_f32 v5, -0.5, v11, v170
	v_sub_f32_e32 v1, v176, v172
	v_dual_sub_f32 v3, v177, v173 :: v_dual_add_nc_u32 v170, 0x3400, v208
	s_delay_alu instid0(VALU_DEP_3) | instskip(SKIP_1) | instid1(VALU_DEP_2)
	v_fmamk_f32 v11, v4, 0x3f737871, v5
	v_fmac_f32_e32 v5, 0xbf737871, v4
	v_dual_mul_f32 v4, 0xbf167918, v135 :: v_dual_fmac_f32 v11, 0xbf167918, v10
	s_delay_alu instid0(VALU_DEP_2) | instskip(NEXT) | instid1(VALU_DEP_2)
	v_fmac_f32_e32 v5, 0x3f167918, v10
	v_fmac_f32_e32 v4, 0xbf4f1bbd, v138
	s_delay_alu instid0(VALU_DEP_3) | instskip(NEXT) | instid1(VALU_DEP_3)
	v_dual_sub_f32 v10, v133, v141 :: v_dual_fmac_f32 v11, 0x3e9e377a, v0
	v_dual_fmac_f32 v5, 0x3e9e377a, v0 :: v_dual_add_f32 v0, v9, v19
	v_fmamk_f32 v9, v7, 0xbf737871, v171
	v_fmac_f32_e32 v171, 0x3f737871, v7
	v_mul_f32_e32 v7, 0xbf4f1bbd, v135
	v_sub_f32_e32 v135, v186, v182
	s_delay_alu instid0(VALU_DEP_4) | instskip(NEXT) | instid1(VALU_DEP_4)
	v_fmac_f32_e32 v9, 0x3f167918, v12
	v_fmac_f32_e32 v171, 0xbf167918, v12
	s_delay_alu instid0(VALU_DEP_4)
	v_fmac_f32_e32 v7, 0x3f167918, v138
	v_mov_b32_e32 v177, v18
	v_fmac_f32_e32 v153, 0x3e9e377a, v14
	v_fmac_f32_e32 v9, 0x3e9e377a, v0
	;; [unrolled: 1-line block ×3, first 2 shown]
	v_sub_f32_e32 v0, v184, v180
	v_sub_f32_e32 v12, v132, v140
	;; [unrolled: 1-line block ×4, first 2 shown]
	s_delay_alu instid0(VALU_DEP_4) | instskip(SKIP_1) | instid1(VALU_DEP_1)
	v_add_f32_e32 v0, v0, v1
	v_add_f32_e32 v1, v180, v172
	v_fma_f32 v1, -0.5, v1, v148
	s_delay_alu instid0(VALU_DEP_1) | instskip(SKIP_1) | instid1(VALU_DEP_2)
	v_fmamk_f32 v2, v146, 0x3f737871, v1
	v_dual_fmac_f32 v1, 0xbf737871, v146 :: v_dual_sub_f32 v146, v175, v179
	v_fmac_f32_e32 v2, 0xbf167918, v143
	s_delay_alu instid0(VALU_DEP_2) | instskip(NEXT) | instid1(VALU_DEP_2)
	v_fmac_f32_e32 v1, 0x3f167918, v143
	v_dual_add_f32 v143, v183, v175 :: v_dual_fmac_f32 v2, 0x3e9e377a, v0
	s_delay_alu instid0(VALU_DEP_2) | instskip(NEXT) | instid1(VALU_DEP_1)
	v_dual_fmac_f32 v1, 0x3e9e377a, v0 :: v_dual_sub_f32 v0, v185, v181
	v_dual_add_f32 v0, v0, v3 :: v_dual_add_f32 v3, v181, v173
	s_delay_alu instid0(VALU_DEP_1) | instskip(NEXT) | instid1(VALU_DEP_1)
	v_fma_f32 v3, -0.5, v3, v149
	v_fmamk_f32 v13, v142, 0xbf737871, v3
	v_fmac_f32_e32 v3, 0x3f737871, v142
	s_delay_alu instid0(VALU_DEP_2) | instskip(NEXT) | instid1(VALU_DEP_2)
	v_dual_sub_f32 v142, v182, v174 :: v_dual_fmac_f32 v13, 0x3f167918, v139
	v_fmac_f32_e32 v3, 0xbf167918, v139
	v_sub_f32_e32 v139, v187, v183
	s_delay_alu instid0(VALU_DEP_3) | instskip(NEXT) | instid1(VALU_DEP_3)
	v_fmac_f32_e32 v13, 0x3e9e377a, v0
	v_fmac_f32_e32 v3, 0x3e9e377a, v0
	s_delay_alu instid0(VALU_DEP_2) | instskip(SKIP_1) | instid1(VALU_DEP_3)
	v_mul_f32_e32 v15, 0xbf737871, v13
	v_mul_f32_e32 v13, 0x3e9e377a, v13
	;; [unrolled: 1-line block ×4, first 2 shown]
	s_delay_alu instid0(VALU_DEP_4) | instskip(NEXT) | instid1(VALU_DEP_4)
	v_fmac_f32_e32 v15, 0x3e9e377a, v2
	v_fmac_f32_e32 v13, 0x3f737871, v2
	s_delay_alu instid0(VALU_DEP_4) | instskip(NEXT) | instid1(VALU_DEP_4)
	v_fmac_f32_e32 v19, 0xbe9e377a, v1
	v_fmac_f32_e32 v148, 0x3f737871, v1
	s_delay_alu instid0(VALU_DEP_3) | instskip(NEXT) | instid1(VALU_DEP_2)
	v_dual_add_f32 v0, v11, v15 :: v_dual_add_f32 v1, v9, v13
	v_dual_add_f32 v2, v5, v19 :: v_dual_add_f32 v3, v171, v148
	ds_store_b128 v221, v[0:3] offset:16
	v_dual_sub_f32 v2, v130, v156 :: v_dual_sub_f32 v3, v131, v157
	v_dual_add_f32 v0, v153, v4 :: v_dual_add_f32 v1, v6, v7
	ds_store_b128 v221, v[0:3] offset:32
	v_sub_f32_e32 v0, v154, v147
	v_sub_f32_e32 v2, v11, v15
	;; [unrolled: 1-line block ×4, first 2 shown]
	v_add_f32_e32 v11, v132, v140
	v_sub_f32_e32 v15, v144, v140
	v_sub_f32_e32 v9, v137, v133
	v_add_f32_e32 v13, v133, v141
	ds_store_b128 v221, v[0:3] offset:48
	v_dual_sub_f32 v1, v171, v148 :: v_dual_sub_f32 v0, v5, v19
	v_dual_sub_f32 v2, v153, v4 :: v_dual_sub_f32 v3, v6, v7
	v_sub_f32_e32 v5, v136, v132
	v_dual_sub_f32 v7, v136, v144 :: v_dual_sub_f32 v4, v137, v145
	v_add_f32_e32 v6, v137, v145
	ds_store_b128 v221, v[0:3] offset:64
	v_dual_add_f32 v0, v128, v132 :: v_dual_add_f32 v1, v129, v133
	v_add_f32_e32 v2, v136, v144
	v_dual_sub_f32 v3, v132, v136 :: v_dual_add_f32 v132, v186, v178
	s_delay_alu instid0(VALU_DEP_3) | instskip(SKIP_2) | instid1(VALU_DEP_4)
	v_dual_add_f32 v0, v0, v136 :: v_dual_add_f32 v1, v1, v137
	v_add_f32_e32 v136, v187, v179
	v_sub_f32_e32 v133, v187, v179
	v_fma_f32 v132, -0.5, v132, v150
	s_delay_alu instid0(VALU_DEP_4) | instskip(NEXT) | instid1(VALU_DEP_4)
	v_dual_add_f32 v0, v0, v144 :: v_dual_add_f32 v1, v1, v145
	v_fma_f32 v136, -0.5, v136, v151
	v_sub_f32_e32 v137, v186, v178
	v_sub_f32_e32 v144, v174, v178
	s_delay_alu instid0(VALU_DEP_4) | instskip(SKIP_2) | instid1(VALU_DEP_4)
	v_dual_add_f32 v130, v0, v140 :: v_dual_add_f32 v131, v1, v141
	v_dual_add_f32 v0, v150, v182 :: v_dual_add_f32 v1, v151, v183
	v_sub_f32_e32 v140, v183, v175
	v_add_f32_e32 v16, v134, v144
	v_add_f32_e32 v134, v138, v146
	s_delay_alu instid0(VALU_DEP_4) | instskip(SKIP_3) | instid1(VALU_DEP_4)
	v_dual_add_f32 v0, v0, v186 :: v_dual_add_f32 v1, v1, v187
	v_fma_f32 v146, -0.5, v2, v128
	v_fma_f32 v6, -0.5, v6, v129
	v_add_f32_e32 v14, v3, v14
	v_dual_add_f32 v0, v0, v178 :: v_dual_add_f32 v1, v1, v179
	s_delay_alu instid0(VALU_DEP_4) | instskip(NEXT) | instid1(VALU_DEP_4)
	v_fmamk_f32 v152, v10, 0xbf737871, v146
	v_fmamk_f32 v153, v12, 0x3f737871, v6
	s_delay_alu instid0(VALU_DEP_3) | instskip(NEXT) | instid1(VALU_DEP_4)
	v_dual_fmac_f32 v151, -0.5, v143 :: v_dual_add_f32 v148, v0, v174
	v_dual_add_f32 v149, v1, v175 :: v_dual_fmamk_f32 v0, v142, 0x3f737871, v136
	v_fmamk_f32 v1, v140, 0xbf737871, v132
	v_fmac_f32_e32 v152, 0xbf167918, v4
	v_fmac_f32_e32 v153, 0x3f167918, v7
	v_sub_f32_e32 v19, v145, v141
	v_fmac_f32_e32 v0, 0x3f167918, v137
	v_fmac_f32_e32 v1, 0xbf167918, v133
	s_delay_alu instid0(VALU_DEP_4) | instskip(SKIP_1) | instid1(VALU_DEP_3)
	v_dual_fmac_f32 v152, 0x3e9e377a, v14 :: v_dual_fmac_f32 v153, 0x3e9e377a, v8
	v_add_f32_e32 v141, v182, v174
	v_dual_fmac_f32 v0, 0x3e9e377a, v134 :: v_dual_fmac_f32 v1, 0x3e9e377a, v16
	v_sub_f32_e32 v147, v179, v175
	v_fmac_f32_e32 v129, -0.5, v13
	s_delay_alu instid0(VALU_DEP_3) | instskip(NEXT) | instid1(VALU_DEP_4)
	v_dual_sub_f32 v145, v178, v174 :: v_dual_mul_f32 v138, 0xbf167918, v0
	v_mul_f32_e32 v144, 0x3f167918, v1
	v_fmac_f32_e32 v136, 0xbf737871, v142
	v_fmac_f32_e32 v132, 0x3f737871, v140
	;; [unrolled: 1-line block ×5, first 2 shown]
	v_dual_add_f32 v0, v130, v148 :: v_dual_add_f32 v1, v131, v149
	v_fmac_f32_e32 v136, 0xbf167918, v137
	s_delay_alu instid0(VALU_DEP_3) | instskip(SKIP_2) | instid1(VALU_DEP_4)
	v_dual_add_f32 v2, v152, v138 :: v_dual_add_f32 v3, v153, v144
	v_fmac_f32_e32 v6, 0xbf737871, v12
	v_fmac_f32_e32 v132, 0x3f167918, v133
	;; [unrolled: 1-line block ×4, first 2 shown]
	ds_store_b128 v248, v[0:3]
	v_add_f32_e32 v3, v5, v15
	v_fma_f32 v5, -0.5, v11, v128
	v_fmamk_f32 v1, v137, 0xbf737871, v151
	v_dual_fmac_f32 v151, 0x3f737871, v137 :: v_dual_add_f32 v0, v139, v147
	v_fma_f32 v2, -0.5, v141, v150
	s_delay_alu instid0(VALU_DEP_4) | instskip(SKIP_1) | instid1(VALU_DEP_4)
	v_fmamk_f32 v11, v4, 0x3f737871, v5
	v_fmac_f32_e32 v5, 0xbf737871, v4
	v_fmac_f32_e32 v151, 0xbf167918, v142
	;; [unrolled: 1-line block ×3, first 2 shown]
	s_delay_alu instid0(VALU_DEP_4) | instskip(NEXT) | instid1(VALU_DEP_4)
	v_dual_fmac_f32 v6, 0xbf167918, v7 :: v_dual_fmac_f32 v11, 0xbf167918, v10
	v_fmac_f32_e32 v5, 0x3f167918, v10
	s_delay_alu instid0(VALU_DEP_4) | instskip(NEXT) | instid1(VALU_DEP_4)
	v_fmac_f32_e32 v151, 0x3e9e377a, v0
	v_fmac_f32_e32 v1, 0x3e9e377a, v0
	v_fmamk_f32 v0, v133, 0x3f737871, v2
	v_fmac_f32_e32 v11, 0x3e9e377a, v3
	v_fmac_f32_e32 v5, 0x3e9e377a, v3
	v_add_f32_e32 v3, v9, v19
	v_fmamk_f32 v9, v7, 0xbf737871, v129
	v_fmac_f32_e32 v129, 0x3f737871, v7
	v_fmac_f32_e32 v2, 0xbf737871, v133
	;; [unrolled: 1-line block ×3, first 2 shown]
	v_mul_f32_e32 v139, 0xbf737871, v151
	v_fmac_f32_e32 v9, 0x3f167918, v12
	v_fmac_f32_e32 v129, 0xbf167918, v12
	;; [unrolled: 1-line block ×3, first 2 shown]
	v_mul_f32_e32 v141, 0xbe9e377a, v151
	v_mul_f32_e32 v13, 0xbf737871, v1
	v_fmac_f32_e32 v9, 0x3e9e377a, v3
	v_fmac_f32_e32 v129, 0x3e9e377a, v3
	v_add_f32_e32 v3, v135, v145
	v_dual_mul_f32 v15, 0x3e9e377a, v1 :: v_dual_fmac_f32 v132, 0x3e9e377a, v16
	v_mul_f32_e32 v4, 0xbf167918, v136
	v_mul_f32_e32 v7, 0xbf4f1bbd, v136
	s_delay_alu instid0(VALU_DEP_4)
	v_fmac_f32_e32 v0, 0x3e9e377a, v3
	v_fmac_f32_e32 v2, 0x3e9e377a, v3
	;; [unrolled: 1-line block ×9, first 2 shown]
	s_delay_alu instid0(VALU_DEP_4) | instskip(NEXT) | instid1(VALU_DEP_4)
	v_dual_fmac_f32 v7, 0x3f167918, v132 :: v_dual_add_f32 v0, v11, v13
	v_add_f32_e32 v1, v9, v15
	s_delay_alu instid0(VALU_DEP_4) | instskip(NEXT) | instid1(VALU_DEP_4)
	v_add_f32_e32 v2, v5, v139
	v_add_f32_e32 v3, v129, v141
	v_add_nc_u32_e32 v175, 0x6000, v208
	v_add_nc_u32_e32 v171, 0x4800, v208
	ds_store_b128 v248, v[0:3] offset:16
	v_dual_sub_f32 v2, v130, v148 :: v_dual_sub_f32 v3, v131, v149
	v_add_f32_e32 v0, v146, v4
	v_add_f32_e32 v1, v6, v7
	ds_store_b128 v248, v[0:3] offset:32
	v_sub_f32_e32 v0, v152, v138
	v_dual_sub_f32 v2, v11, v13 :: v_dual_sub_f32 v1, v153, v144
	v_sub_f32_e32 v3, v9, v15
	ds_store_b128 v248, v[0:3] offset:48
	v_sub_f32_e32 v1, v129, v141
	v_sub_f32_e32 v0, v5, v139
	;; [unrolled: 1-line block ×4, first 2 shown]
	ds_store_b128 v248, v[0:3] offset:64
	global_wb scope:SCOPE_SE
	s_wait_dscnt 0x0
	s_barrier_signal -1
	s_barrier_wait -1
	global_inv scope:SCOPE_SE
	ds_load_2addr_b64 v[0:3], v18 offset0:32 offset1:152
	s_wait_dscnt 0x0
	v_mul_f32_e32 v131, v254, v1
	v_mul_f32_e32 v129, v244, v3
	s_delay_alu instid0(VALU_DEP_2) | instskip(NEXT) | instid1(VALU_DEP_2)
	v_fmac_f32_e32 v131, v253, v0
	v_dual_mul_f32 v0, v254, v0 :: v_dual_fmac_f32 v129, v243, v2
	s_delay_alu instid0(VALU_DEP_1) | instskip(SKIP_1) | instid1(VALU_DEP_1)
	v_fma_f32 v132, v253, v1, -v0
	v_mul_f32_e32 v0, v244, v2
	v_fma_f32 v130, v243, v3, -v0
	ds_load_2addr_b64 v[0:3], v175 offset0:48 offset1:168
	s_wait_dscnt 0x0
	v_mul_f32_e32 v134, v246, v3
	v_mul_f32_e32 v128, v71, v1
	s_delay_alu instid0(VALU_DEP_2) | instskip(SKIP_1) | instid1(VALU_DEP_3)
	v_fmac_f32_e32 v134, v245, v2
	v_mul_f32_e32 v2, v246, v2
	v_fmac_f32_e32 v128, v70, v0
	v_mul_f32_e32 v0, v71, v0
	s_delay_alu instid0(VALU_DEP_3) | instskip(NEXT) | instid1(VALU_DEP_2)
	v_fma_f32 v133, v245, v3, -v2
	v_fma_f32 v71, v70, v1, -v0
	ds_load_2addr_b64 v[0:3], v201 offset0:80 offset1:200
	s_wait_dscnt 0x0
	v_mul_f32_e32 v70, v69, v3
	s_delay_alu instid0(VALU_DEP_1) | instskip(SKIP_2) | instid1(VALU_DEP_2)
	v_fmac_f32_e32 v70, v68, v2
	v_mul_f32_e32 v2, v69, v2
	v_mul_f32_e32 v69, v37, v1
	v_fma_f32 v68, v68, v3, -v2
	s_delay_alu instid0(VALU_DEP_2) | instskip(SKIP_2) | instid1(VALU_DEP_2)
	v_fmac_f32_e32 v69, v36, v0
	v_mul_f32_e32 v0, v37, v0
	v_add_nc_u32_e32 v168, 0x5800, v208
	v_fma_f32 v37, v36, v1, -v0
	ds_load_2addr_b64 v[0:3], v168 offset0:64 offset1:184
	s_wait_dscnt 0x0
	v_mul_f32_e32 v36, v39, v3
	s_delay_alu instid0(VALU_DEP_1) | instskip(SKIP_2) | instid1(VALU_DEP_2)
	v_fmac_f32_e32 v36, v38, v2
	v_mul_f32_e32 v138, v35, v1
	v_mul_f32_e32 v2, v39, v2
	v_fmac_f32_e32 v138, v34, v0
	v_mul_f32_e32 v0, v35, v0
	s_delay_alu instid0(VALU_DEP_3) | instskip(NEXT) | instid1(VALU_DEP_2)
	v_fma_f32 v38, v38, v3, -v2
	v_fma_f32 v137, v34, v1, -v0
	ds_load_2addr_b64 v[0:3], v171 offset0:96 offset1:216
	s_wait_dscnt 0x0
	v_mul_f32_e32 v136, v33, v3
	s_delay_alu instid0(VALU_DEP_1) | instskip(SKIP_1) | instid1(VALU_DEP_1)
	v_fmac_f32_e32 v136, v32, v2
	v_mul_f32_e32 v2, v33, v2
	v_fma_f32 v135, v32, v3, -v2
	v_mul_f32_e32 v32, v55, v1
	s_delay_alu instid0(VALU_DEP_1) | instskip(SKIP_1) | instid1(VALU_DEP_1)
	v_fmac_f32_e32 v32, v54, v0
	v_mul_f32_e32 v0, v55, v0
	v_fma_f32 v33, v54, v1, -v0
	ds_load_2addr_b64 v[0:3], v209 offset0:128 offset1:248
	s_wait_dscnt 0x0
	v_mul_f32_e32 v34, v53, v3
	s_delay_alu instid0(VALU_DEP_1) | instskip(NEXT) | instid1(VALU_DEP_1)
	v_dual_mul_f32 v39, v29, v1 :: v_dual_fmac_f32 v34, v52, v2
	v_dual_mul_f32 v2, v53, v2 :: v_dual_fmac_f32 v39, v28, v0
	v_mul_f32_e32 v0, v29, v0
	s_delay_alu instid0(VALU_DEP_2) | instskip(NEXT) | instid1(VALU_DEP_2)
	v_fma_f32 v35, v52, v3, -v2
	v_fma_f32 v29, v28, v1, -v0
	ds_load_2addr_b64 v[0:3], v166 offset0:112 offset1:232
	s_wait_dscnt 0x0
	v_mul_f32_e32 v28, v31, v3
	v_mul_f32_e32 v140, v23, v1
	s_delay_alu instid0(VALU_DEP_2) | instskip(SKIP_1) | instid1(VALU_DEP_3)
	v_fmac_f32_e32 v28, v30, v2
	v_mul_f32_e32 v2, v31, v2
	v_fmac_f32_e32 v140, v22, v0
	v_mul_f32_e32 v0, v23, v0
	s_delay_alu instid0(VALU_DEP_3) | instskip(NEXT) | instid1(VALU_DEP_2)
	v_fma_f32 v30, v30, v3, -v2
	v_fma_f32 v139, v22, v1, -v0
	ds_load_2addr_b64 v[0:3], v170 offset0:16 offset1:136
	s_wait_dscnt 0x0
	v_mul_f32_e32 v55, v21, v3
	s_delay_alu instid0(VALU_DEP_1) | instskip(NEXT) | instid1(VALU_DEP_1)
	v_fmac_f32_e32 v55, v20, v2
	v_dual_mul_f32 v2, v21, v2 :: v_dual_sub_f32 v149, v55, v136
	s_delay_alu instid0(VALU_DEP_1) | instskip(SKIP_1) | instid1(VALU_DEP_2)
	v_fma_f32 v54, v20, v3, -v2
	v_mul_f32_e32 v20, v43, v1
	v_sub_f32_e32 v150, v54, v135
	s_delay_alu instid0(VALU_DEP_2) | instskip(SKIP_1) | instid1(VALU_DEP_1)
	v_fmac_f32_e32 v20, v42, v0
	v_mul_f32_e32 v0, v43, v0
	v_fma_f32 v23, v42, v1, -v0
	ds_load_2addr_b64 v[0:3], v217 offset0:48 offset1:168
	s_wait_dscnt 0x0
	v_mul_f32_e32 v21, v41, v3
	v_mul_f32_e32 v31, v189, v1
	s_delay_alu instid0(VALU_DEP_2) | instskip(NEXT) | instid1(VALU_DEP_2)
	v_fmac_f32_e32 v21, v40, v2
	v_dual_mul_f32 v2, v41, v2 :: v_dual_fmac_f32 v31, v188, v0
	v_mul_f32_e32 v0, v189, v0
	s_delay_alu instid0(VALU_DEP_2) | instskip(NEXT) | instid1(VALU_DEP_2)
	v_fma_f32 v22, v40, v3, -v2
	v_fma_f32 v17, v188, v1, -v0
	ds_load_2addr_b64 v[0:3], v165 offset0:32 offset1:152
	s_wait_dscnt 0x0
	v_dual_mul_f32 v16, v191, v3 :: v_dual_mul_f32 v153, v234, v1
	s_delay_alu instid0(VALU_DEP_1) | instskip(NEXT) | instid1(VALU_DEP_2)
	v_fmac_f32_e32 v16, v190, v2
	v_dual_mul_f32 v2, v191, v2 :: v_dual_fmac_f32 v153, v233, v0
	v_mul_f32_e32 v0, v234, v0
	s_delay_alu instid0(VALU_DEP_2) | instskip(NEXT) | instid1(VALU_DEP_3)
	v_fma_f32 v40, v190, v3, -v2
	v_sub_f32_e32 v159, v153, v140
	s_delay_alu instid0(VALU_DEP_3)
	v_fma_f32 v148, v233, v1, -v0
	ds_load_2addr_b64 v[0:3], v169 offset0:64 offset1:184
	v_add_f32_e32 v11, v148, v139
	v_sub_f32_e32 v156, v148, v139
	s_wait_dscnt 0x0
	v_dual_mul_f32 v147, v232, v3 :: v_dual_mul_f32 v14, v27, v1
	s_delay_alu instid0(VALU_DEP_1) | instskip(SKIP_1) | instid1(VALU_DEP_3)
	v_fmac_f32_e32 v147, v231, v2
	v_mul_f32_e32 v2, v232, v2
	v_fmac_f32_e32 v14, v26, v0
	v_mul_f32_e32 v0, v27, v0
	s_delay_alu instid0(VALU_DEP_4) | instskip(NEXT) | instid1(VALU_DEP_4)
	v_sub_f32_e32 v151, v147, v134
	v_fma_f32 v141, v231, v3, -v2
	s_delay_alu instid0(VALU_DEP_3)
	v_fma_f32 v15, v26, v1, -v0
	ds_load_2addr_b64 v[0:3], v255 offset0:96 offset1:216
	v_sub_f32_e32 v152, v141, v133
	s_wait_dscnt 0x0
	v_mul_f32_e32 v12, v25, v3
	v_mul_f32_e32 v18, v213, v1
	s_delay_alu instid0(VALU_DEP_2) | instskip(SKIP_1) | instid1(VALU_DEP_3)
	v_fmac_f32_e32 v12, v24, v2
	v_mul_f32_e32 v2, v25, v2
	v_fmac_f32_e32 v18, v212, v0
	v_mul_f32_e32 v0, v213, v0
	s_delay_alu instid0(VALU_DEP_3) | instskip(NEXT) | instid1(VALU_DEP_2)
	v_fma_f32 v13, v24, v3, -v2
	v_fma_f32 v19, v212, v1, -v0
	ds_load_2addr_b64 v[0:3], v164 offset0:80 offset1:200
	s_wait_dscnt 0x0
	v_dual_mul_f32 v24, v215, v3 :: v_dual_mul_f32 v155, v252, v1
	s_delay_alu instid0(VALU_DEP_1) | instskip(SKIP_1) | instid1(VALU_DEP_3)
	v_fmac_f32_e32 v24, v214, v2
	v_mul_f32_e32 v2, v215, v2
	v_fmac_f32_e32 v155, v251, v0
	v_mul_f32_e32 v0, v252, v0
	s_delay_alu instid0(VALU_DEP_3) | instskip(SKIP_3) | instid1(VALU_DEP_2)
	v_fma_f32 v25, v214, v3, -v2
	ds_load_2addr_b64 v[2:5], v167 offset0:112 offset1:232
	v_fma_f32 v154, v251, v1, -v0
	v_dual_sub_f32 v1, v138, v140 :: v_dual_sub_f32 v160, v155, v138
	v_sub_f32_e32 v157, v154, v137
	s_wait_dscnt 0x0
	v_mul_f32_e32 v0, v250, v4
	v_mul_f32_e32 v143, v250, v5
	s_delay_alu instid0(VALU_DEP_2) | instskip(NEXT) | instid1(VALU_DEP_2)
	v_fma_f32 v146, v249, v5, -v0
	v_dual_sub_f32 v0, v155, v153 :: v_dual_fmac_f32 v143, v249, v4
	s_delay_alu instid0(VALU_DEP_2) | instskip(NEXT) | instid1(VALU_DEP_2)
	v_add_f32_e32 v10, v146, v141
	v_dual_add_f32 v43, v0, v1 :: v_dual_sub_f32 v0, v154, v148
	v_sub_f32_e32 v1, v137, v139
	s_delay_alu instid0(VALU_DEP_3) | instskip(NEXT) | instid1(VALU_DEP_2)
	v_dual_add_f32 v9, v143, v147 :: v_dual_add_f32 v10, v10, v54
	v_add_f32_e32 v52, v0, v1
	v_dual_sub_f32 v0, v147, v55 :: v_dual_sub_f32 v1, v134, v136
	s_delay_alu instid0(VALU_DEP_3) | instskip(NEXT) | instid1(VALU_DEP_2)
	v_add_f32_e32 v9, v9, v55
	v_dual_add_f32 v10, v10, v135 :: v_dual_add_f32 v53, v0, v1
	v_sub_f32_e32 v0, v141, v54
	v_sub_f32_e32 v1, v133, v135
	s_delay_alu instid0(VALU_DEP_4) | instskip(NEXT) | instid1(VALU_DEP_4)
	v_add_f32_e32 v9, v9, v136
	v_add_f32_e32 v163, v10, v133
	s_delay_alu instid0(VALU_DEP_3) | instskip(NEXT) | instid1(VALU_DEP_3)
	v_dual_add_f32 v145, v0, v1 :: v_dual_add_f32 v0, v55, v136
	v_add_f32_e32 v162, v9, v134
	s_delay_alu instid0(VALU_DEP_2) | instskip(SKIP_1) | instid1(VALU_DEP_2)
	v_fma_f32 v142, -0.5, v0, v143
	v_add_f32_e32 v0, v54, v135
	v_fmamk_f32 v4, v152, 0xbf737871, v142
	s_delay_alu instid0(VALU_DEP_2) | instskip(SKIP_1) | instid1(VALU_DEP_3)
	v_fma_f32 v144, -0.5, v0, v146
	v_fmac_f32_e32 v142, 0x3f737871, v152
	v_fmac_f32_e32 v4, 0xbf167918, v150
	s_delay_alu instid0(VALU_DEP_3) | instskip(SKIP_1) | instid1(VALU_DEP_4)
	v_fmamk_f32 v1, v151, 0x3f737871, v144
	v_fmac_f32_e32 v144, 0xbf737871, v151
	v_fmac_f32_e32 v142, 0x3f167918, v150
	s_delay_alu instid0(VALU_DEP_4) | instskip(NEXT) | instid1(VALU_DEP_4)
	v_fmac_f32_e32 v4, 0x3e9e377a, v53
	v_fmac_f32_e32 v1, 0x3f167918, v149
	s_delay_alu instid0(VALU_DEP_4) | instskip(NEXT) | instid1(VALU_DEP_4)
	v_fmac_f32_e32 v144, 0xbf167918, v149
	v_fmac_f32_e32 v142, 0x3e9e377a, v53
	s_delay_alu instid0(VALU_DEP_3) | instskip(NEXT) | instid1(VALU_DEP_3)
	v_fmac_f32_e32 v1, 0x3e9e377a, v145
	v_fmac_f32_e32 v144, 0x3e9e377a, v145
	s_delay_alu instid0(VALU_DEP_2) | instskip(SKIP_1) | instid1(VALU_DEP_2)
	v_mul_f32_e32 v0, 0xbf167918, v1
	v_mul_f32_e32 v26, 0x3f4f1bbd, v1
	v_fmac_f32_e32 v0, 0x3f4f1bbd, v4
	s_delay_alu instid0(VALU_DEP_2)
	v_fmac_f32_e32 v26, 0x3f167918, v4
	ds_load_2addr_b64 v[4:7], v208 offset1:120
	global_wb scope:SCOPE_SE
	s_wait_dscnt 0x0
	s_barrier_signal -1
	s_barrier_wait -1
	global_inv scope:SCOPE_SE
	v_dual_add_f32 v1, v4, v155 :: v_dual_add_f32 v8, v5, v154
	v_fma_f32 v27, -0.5, v11, v5
	s_delay_alu instid0(VALU_DEP_2) | instskip(NEXT) | instid1(VALU_DEP_2)
	v_dual_add_f32 v1, v1, v153 :: v_dual_add_f32 v8, v8, v148
	v_fmamk_f32 v42, v160, 0x3f737871, v27
	v_fmac_f32_e32 v27, 0xbf737871, v160
	s_delay_alu instid0(VALU_DEP_3) | instskip(NEXT) | instid1(VALU_DEP_3)
	v_dual_add_f32 v1, v1, v140 :: v_dual_add_f32 v8, v8, v139
	v_fmac_f32_e32 v42, 0x3f167918, v159
	s_delay_alu instid0(VALU_DEP_2) | instskip(SKIP_1) | instid1(VALU_DEP_3)
	v_dual_fmac_f32 v27, 0xbf167918, v159 :: v_dual_add_f32 v158, v1, v138
	v_add_f32_e32 v1, v153, v140
	v_dual_add_f32 v161, v8, v137 :: v_dual_fmac_f32 v42, 0x3e9e377a, v52
	s_delay_alu instid0(VALU_DEP_3) | instskip(NEXT) | instid1(VALU_DEP_3)
	v_dual_fmac_f32 v27, 0x3e9e377a, v52 :: v_dual_add_f32 v8, v158, v162
	v_fma_f32 v1, -0.5, v1, v4
	s_delay_alu instid0(VALU_DEP_3) | instskip(NEXT) | instid1(VALU_DEP_4)
	v_add_f32_e32 v9, v161, v163
	v_dual_add_f32 v11, v42, v26 :: v_dual_mul_f32 v52, 0xbf4f1bbd, v144
	s_delay_alu instid0(VALU_DEP_3) | instskip(SKIP_1) | instid1(VALU_DEP_3)
	v_fmamk_f32 v41, v157, 0xbf737871, v1
	v_fmac_f32_e32 v1, 0x3f737871, v157
	v_fmac_f32_e32 v52, 0x3f167918, v142
	s_delay_alu instid0(VALU_DEP_3) | instskip(NEXT) | instid1(VALU_DEP_3)
	v_fmac_f32_e32 v41, 0xbf167918, v156
	v_fmac_f32_e32 v1, 0x3f167918, v156
	s_delay_alu instid0(VALU_DEP_2) | instskip(NEXT) | instid1(VALU_DEP_2)
	v_fmac_f32_e32 v41, 0x3e9e377a, v43
	v_fmac_f32_e32 v1, 0x3e9e377a, v43
	v_mul_f32_e32 v43, 0xbf167918, v144
	s_delay_alu instid0(VALU_DEP_1) | instskip(SKIP_3) | instid1(VALU_DEP_2)
	v_dual_add_f32 v10, v41, v0 :: v_dual_fmac_f32 v43, 0xbf4f1bbd, v142
	ds_store_2addr_b64 v247, v[8:9], v[10:11] offset1:10
	v_add_f32_e32 v10, v155, v138
	v_dual_sub_f32 v8, v153, v155 :: v_dual_sub_f32 v9, v140, v138
	v_fma_f32 v10, -0.5, v10, v4
	v_sub_f32_e32 v4, v148, v154
	s_delay_alu instid0(VALU_DEP_3) | instskip(SKIP_1) | instid1(VALU_DEP_4)
	v_add_f32_e32 v8, v8, v9
	v_add_f32_e32 v9, v154, v137
	v_fmamk_f32 v11, v156, 0x3f737871, v10
	v_fmac_f32_e32 v10, 0xbf737871, v156
	s_delay_alu instid0(VALU_DEP_2) | instskip(NEXT) | instid1(VALU_DEP_2)
	v_fmac_f32_e32 v11, 0xbf167918, v157
	v_fmac_f32_e32 v10, 0x3f167918, v157
	s_delay_alu instid0(VALU_DEP_2) | instskip(NEXT) | instid1(VALU_DEP_2)
	v_fmac_f32_e32 v11, 0x3e9e377a, v8
	v_fmac_f32_e32 v10, 0x3e9e377a, v8
	v_dual_sub_f32 v8, v139, v137 :: v_dual_sub_f32 v139, v16, v28
	s_delay_alu instid0(VALU_DEP_1)
	v_add_f32_e32 v4, v4, v8
	v_sub_f32_e32 v8, v55, v147
	v_add_f32_e32 v55, v147, v134
	v_sub_f32_e32 v134, v136, v134
	v_fma_f32 v136, -0.5, v9, v5
	v_add_f32_e32 v5, v141, v133
	s_delay_alu instid0(VALU_DEP_4) | instskip(NEXT) | instid1(VALU_DEP_3)
	v_fmac_f32_e32 v143, -0.5, v55
	v_fmamk_f32 v137, v159, 0xbf737871, v136
	v_fmac_f32_e32 v136, 0x3f737871, v159
	s_delay_alu instid0(VALU_DEP_3) | instskip(SKIP_1) | instid1(VALU_DEP_4)
	v_dual_fmac_f32 v146, -0.5, v5 :: v_dual_fmamk_f32 v9, v150, 0x3f737871, v143
	v_fmac_f32_e32 v143, 0xbf737871, v150
	v_fmac_f32_e32 v137, 0x3f167918, v160
	s_delay_alu instid0(VALU_DEP_4) | instskip(NEXT) | instid1(VALU_DEP_4)
	v_dual_fmac_f32 v136, 0xbf167918, v160 :: v_dual_sub_f32 v5, v54, v141
	v_fmac_f32_e32 v9, 0xbf167918, v152
	s_delay_alu instid0(VALU_DEP_4) | instskip(NEXT) | instid1(VALU_DEP_4)
	v_fmac_f32_e32 v143, 0x3f167918, v152
	v_fmac_f32_e32 v137, 0x3e9e377a, v4
	s_delay_alu instid0(VALU_DEP_4) | instskip(SKIP_2) | instid1(VALU_DEP_2)
	v_fmac_f32_e32 v136, 0x3e9e377a, v4
	v_add_f32_e32 v4, v8, v134
	v_dual_sub_f32 v8, v135, v133 :: v_dual_sub_f32 v135, v25, v38
	v_fmac_f32_e32 v9, 0x3e9e377a, v4
	v_fmac_f32_e32 v143, 0x3e9e377a, v4
	s_delay_alu instid0(VALU_DEP_3) | instskip(SKIP_2) | instid1(VALU_DEP_2)
	v_add_f32_e32 v4, v5, v8
	v_fmamk_f32 v5, v149, 0xbf737871, v146
	v_fmac_f32_e32 v146, 0x3f737871, v149
	v_fmac_f32_e32 v5, 0x3f167918, v151
	s_delay_alu instid0(VALU_DEP_2) | instskip(NEXT) | instid1(VALU_DEP_2)
	v_fmac_f32_e32 v146, 0xbf167918, v151
	v_fmac_f32_e32 v5, 0x3e9e377a, v4
	s_delay_alu instid0(VALU_DEP_2) | instskip(NEXT) | instid1(VALU_DEP_2)
	v_fmac_f32_e32 v146, 0x3e9e377a, v4
	v_mul_f32_e32 v54, 0xbf737871, v5
	v_mul_f32_e32 v55, 0x3e9e377a, v5
	s_delay_alu instid0(VALU_DEP_3) | instskip(SKIP_1) | instid1(VALU_DEP_4)
	v_mul_f32_e32 v133, 0xbf737871, v146
	v_mul_f32_e32 v134, 0xbe9e377a, v146
	v_fmac_f32_e32 v54, 0x3e9e377a, v9
	s_delay_alu instid0(VALU_DEP_4) | instskip(NEXT) | instid1(VALU_DEP_4)
	v_fmac_f32_e32 v55, 0x3f737871, v9
	v_fmac_f32_e32 v133, 0xbe9e377a, v143
	s_delay_alu instid0(VALU_DEP_4) | instskip(NEXT) | instid1(VALU_DEP_3)
	v_fmac_f32_e32 v134, 0x3f737871, v143
	v_dual_add_f32 v4, v11, v54 :: v_dual_add_f32 v5, v137, v55
	s_delay_alu instid0(VALU_DEP_2)
	v_dual_add_f32 v8, v10, v133 :: v_dual_add_f32 v9, v136, v134
	ds_store_2addr_b64 v247, v[4:5], v[8:9] offset0:20 offset1:30
	v_dual_sub_f32 v4, v158, v162 :: v_dual_sub_f32 v5, v161, v163
	v_dual_add_f32 v8, v1, v43 :: v_dual_add_f32 v9, v27, v52
	ds_store_2addr_b64 v247, v[8:9], v[4:5] offset0:40 offset1:50
	v_dual_sub_f32 v4, v41, v0 :: v_dual_sub_f32 v5, v42, v26
	v_dual_sub_f32 v8, v11, v54 :: v_dual_sub_f32 v9, v137, v55
	;; [unrolled: 1-line block ×3, first 2 shown]
	v_sub_f32_e32 v41, v31, v131
	v_sub_f32_e32 v42, v39, v69
	ds_store_2addr_b64 v247, v[4:5], v[8:9] offset0:60 offset1:70
	v_dual_sub_f32 v4, v10, v133 :: v_dual_sub_f32 v5, v136, v134
	v_sub_f32_e32 v43, v17, v132
	v_sub_f32_e32 v52, v29, v37
	;; [unrolled: 1-line block ×3, first 2 shown]
	ds_store_2addr_b64 v247, v[4:5], v[0:1] offset0:80 offset1:90
	v_sub_f32_e32 v0, v24, v16
	v_sub_f32_e32 v1, v36, v28
	v_dual_add_f32 v5, v19, v17 :: v_dual_add_f32 v4, v18, v31
	s_delay_alu instid0(VALU_DEP_2) | instskip(SKIP_1) | instid1(VALU_DEP_3)
	v_add_f32_e32 v8, v0, v1
	v_dual_sub_f32 v0, v25, v40 :: v_dual_sub_f32 v1, v38, v30
	v_dual_add_f32 v5, v5, v29 :: v_dual_add_f32 v4, v4, v39
	s_delay_alu instid0(VALU_DEP_2) | instskip(SKIP_1) | instid1(VALU_DEP_3)
	v_dual_add_f32 v9, v0, v1 :: v_dual_sub_f32 v0, v31, v39
	v_sub_f32_e32 v1, v131, v69
	v_add_f32_e32 v4, v4, v69
	s_delay_alu instid0(VALU_DEP_4) | instskip(NEXT) | instid1(VALU_DEP_3)
	v_add_f32_e32 v5, v5, v37
	v_add_f32_e32 v10, v0, v1
	v_sub_f32_e32 v0, v17, v29
	v_sub_f32_e32 v1, v132, v37
	s_delay_alu instid0(VALU_DEP_4) | instskip(NEXT) | instid1(VALU_DEP_2)
	v_dual_add_f32 v142, v4, v131 :: v_dual_add_f32 v143, v5, v132
	v_add_f32_e32 v11, v0, v1
	v_add_f32_e32 v0, v39, v69
	s_delay_alu instid0(VALU_DEP_1) | instskip(SKIP_3) | instid1(VALU_DEP_4)
	v_fma_f32 v26, -0.5, v0, v18
	v_add_f32_e32 v0, v29, v37
	v_sub_f32_e32 v29, v29, v17
	v_add_f32_e32 v17, v17, v132
	v_dual_sub_f32 v138, v24, v36 :: v_dual_fmamk_f32 v1, v43, 0xbf737871, v26
	s_delay_alu instid0(VALU_DEP_4) | instskip(NEXT) | instid1(VALU_DEP_3)
	v_fma_f32 v27, -0.5, v0, v19
	v_dual_fmac_f32 v26, 0x3f737871, v43 :: v_dual_fmac_f32 v19, -0.5, v17
	v_add_f32_e32 v17, v24, v36
	s_delay_alu instid0(VALU_DEP_4) | instskip(NEXT) | instid1(VALU_DEP_4)
	v_fmac_f32_e32 v1, 0xbf167918, v52
	v_fmamk_f32 v0, v41, 0x3f737871, v27
	v_fmac_f32_e32 v27, 0xbf737871, v41
	v_fmac_f32_e32 v26, 0x3f167918, v52
	s_delay_alu instid0(VALU_DEP_4) | instskip(NEXT) | instid1(VALU_DEP_4)
	v_fmac_f32_e32 v1, 0x3e9e377a, v10
	v_fmac_f32_e32 v0, 0x3f167918, v42
	s_delay_alu instid0(VALU_DEP_4) | instskip(NEXT) | instid1(VALU_DEP_4)
	v_fmac_f32_e32 v27, 0xbf167918, v42
	v_fmac_f32_e32 v26, 0x3e9e377a, v10
	s_delay_alu instid0(VALU_DEP_3) | instskip(NEXT) | instid1(VALU_DEP_3)
	v_fmac_f32_e32 v0, 0x3e9e377a, v11
	v_fmac_f32_e32 v27, 0x3e9e377a, v11
	s_delay_alu instid0(VALU_DEP_2) | instskip(SKIP_1) | instid1(VALU_DEP_2)
	v_mul_f32_e32 v53, 0xbf167918, v0
	v_mul_f32_e32 v54, 0x3f4f1bbd, v0
	v_dual_add_f32 v0, v40, v30 :: v_dual_fmac_f32 v53, 0x3f4f1bbd, v1
	s_delay_alu instid0(VALU_DEP_2) | instskip(NEXT) | instid1(VALU_DEP_2)
	v_fmac_f32_e32 v54, 0x3f167918, v1
	v_fma_f32 v55, -0.5, v0, v7
	v_dual_add_f32 v0, v6, v24 :: v_dual_add_f32 v1, v7, v25
	s_delay_alu instid0(VALU_DEP_2) | instskip(SKIP_1) | instid1(VALU_DEP_2)
	v_fmamk_f32 v140, v138, 0x3f737871, v55
	v_fmac_f32_e32 v55, 0xbf737871, v138
	v_dual_add_f32 v1, v1, v40 :: v_dual_fmac_f32 v140, 0x3f167918, v139
	s_delay_alu instid0(VALU_DEP_2) | instskip(NEXT) | instid1(VALU_DEP_2)
	v_fmac_f32_e32 v55, 0xbf167918, v139
	v_dual_add_f32 v1, v1, v30 :: v_dual_fmac_f32 v140, 0x3e9e377a, v9
	s_delay_alu instid0(VALU_DEP_2) | instskip(SKIP_2) | instid1(VALU_DEP_4)
	v_fmac_f32_e32 v55, 0x3e9e377a, v9
	v_mul_f32_e32 v9, 0xbf4f1bbd, v27
	v_add_f32_e32 v133, v16, v28
	v_dual_add_f32 v0, v0, v16 :: v_dual_add_f32 v141, v1, v38
	v_add_f32_e32 v5, v140, v54
	s_delay_alu instid0(VALU_DEP_4) | instskip(NEXT) | instid1(VALU_DEP_4)
	v_fmac_f32_e32 v9, 0x3f167918, v26
	v_fma_f32 v133, -0.5, v133, v6
	s_delay_alu instid0(VALU_DEP_4) | instskip(SKIP_1) | instid1(VALU_DEP_2)
	v_dual_add_f32 v0, v0, v28 :: v_dual_add_f32 v1, v141, v143
	v_fma_f32 v6, -0.5, v17, v6
	v_dual_fmamk_f32 v137, v135, 0xbf737871, v133 :: v_dual_add_f32 v134, v0, v36
	v_fmac_f32_e32 v133, 0x3f737871, v135
	s_delay_alu instid0(VALU_DEP_3) | instskip(SKIP_1) | instid1(VALU_DEP_4)
	v_fmamk_f32 v17, v136, 0x3f737871, v6
	v_fmac_f32_e32 v6, 0xbf737871, v136
	v_dual_fmac_f32 v137, 0xbf167918, v136 :: v_dual_add_f32 v0, v134, v142
	s_delay_alu instid0(VALU_DEP_4) | instskip(NEXT) | instid1(VALU_DEP_4)
	v_fmac_f32_e32 v133, 0x3f167918, v136
	v_fmac_f32_e32 v17, 0xbf167918, v135
	s_delay_alu instid0(VALU_DEP_4) | instskip(NEXT) | instid1(VALU_DEP_4)
	v_fmac_f32_e32 v6, 0x3f167918, v135
	v_fmac_f32_e32 v137, 0x3e9e377a, v8
	s_delay_alu instid0(VALU_DEP_4) | instskip(SKIP_1) | instid1(VALU_DEP_3)
	v_fmac_f32_e32 v133, 0x3e9e377a, v8
	v_mul_f32_e32 v8, 0xbf167918, v27
	v_add_f32_e32 v4, v137, v53
	s_delay_alu instid0(VALU_DEP_2) | instskip(SKIP_4) | instid1(VALU_DEP_3)
	v_fmac_f32_e32 v8, 0xbf4f1bbd, v26
	ds_store_2addr_b64 v225, v[0:1], v[4:5] offset1:10
	v_dual_add_f32 v5, v31, v131 :: v_dual_add_f32 v0, v25, v38
	v_dual_sub_f32 v1, v30, v38 :: v_dual_sub_f32 v4, v39, v31
	v_sub_f32_e32 v30, v37, v132
	v_dual_fmac_f32 v18, -0.5, v5 :: v_dual_sub_f32 v5, v16, v24
	v_sub_f32_e32 v16, v28, v36
	v_dual_fmac_f32 v7, -0.5, v0 :: v_dual_sub_f32 v0, v40, v25
	s_delay_alu instid0(VALU_DEP_3) | instskip(NEXT) | instid1(VALU_DEP_3)
	v_dual_sub_f32 v25, v69, v131 :: v_dual_fmamk_f32 v24, v52, 0x3f737871, v18
	v_dual_add_f32 v5, v5, v16 :: v_dual_fmamk_f32 v16, v42, 0xbf737871, v19
	s_delay_alu instid0(VALU_DEP_3) | instskip(NEXT) | instid1(VALU_DEP_3)
	v_dual_fmac_f32 v19, 0x3f737871, v42 :: v_dual_add_f32 v0, v0, v1
	v_dual_add_f32 v1, v4, v25 :: v_dual_add_f32 v4, v29, v30
	v_fmac_f32_e32 v18, 0xbf737871, v52
	s_delay_alu instid0(VALU_DEP_3)
	v_fmac_f32_e32 v19, 0xbf167918, v41
	v_fmac_f32_e32 v16, 0x3f167918, v41
	;; [unrolled: 1-line block ×10, first 2 shown]
	v_mul_f32_e32 v25, 0xbe9e377a, v19
	v_dual_mul_f32 v19, 0xbf737871, v19 :: v_dual_mul_f32 v28, 0xbf737871, v16
	v_dual_mul_f32 v16, 0x3e9e377a, v16 :: v_dual_sub_f32 v29, v15, v71
	s_delay_alu instid0(VALU_DEP_3) | instskip(NEXT) | instid1(VALU_DEP_3)
	v_fmac_f32_e32 v25, 0x3f737871, v18
	v_fmac_f32_e32 v19, 0xbe9e377a, v18
	v_fmamk_f32 v18, v139, 0xbf737871, v7
	v_fmac_f32_e32 v7, 0x3f737871, v139
	v_fmac_f32_e32 v28, 0x3e9e377a, v24
	;; [unrolled: 1-line block ×3, first 2 shown]
	s_delay_alu instid0(VALU_DEP_4) | instskip(NEXT) | instid1(VALU_DEP_3)
	v_dual_add_f32 v27, v20, v32 :: v_dual_fmac_f32 v18, 0x3f167918, v138
	v_dual_fmac_f32 v7, 0xbf167918, v138 :: v_dual_add_f32 v4, v17, v28
	v_sub_f32_e32 v30, v23, v33
	s_delay_alu instid0(VALU_DEP_3) | instskip(NEXT) | instid1(VALU_DEP_4)
	v_fma_f32 v27, -0.5, v27, v2
	v_fmac_f32_e32 v18, 0x3e9e377a, v0
	s_delay_alu instid0(VALU_DEP_4) | instskip(SKIP_1) | instid1(VALU_DEP_4)
	v_dual_fmac_f32 v7, 0x3e9e377a, v0 :: v_dual_add_f32 v0, v6, v19
	v_sub_f32_e32 v37, v20, v32
	v_fmamk_f32 v31, v29, 0xbf737871, v27
	s_delay_alu instid0(VALU_DEP_4) | instskip(NEXT) | instid1(VALU_DEP_4)
	v_add_f32_e32 v5, v18, v16
	v_add_f32_e32 v1, v7, v25
	v_fmac_f32_e32 v27, 0x3f737871, v29
	s_delay_alu instid0(VALU_DEP_4)
	v_fmac_f32_e32 v31, 0xbf167918, v30
	ds_store_2addr_b64 v225, v[4:5], v[0:1] offset0:20 offset1:30
	v_dual_sub_f32 v0, v134, v142 :: v_dual_sub_f32 v1, v141, v143
	v_dual_add_f32 v4, v133, v8 :: v_dual_add_f32 v5, v55, v9
	v_fmac_f32_e32 v27, 0x3f167918, v30
	ds_store_2addr_b64 v225, v[4:5], v[0:1] offset0:40 offset1:50
	v_dual_sub_f32 v0, v137, v53 :: v_dual_sub_f32 v1, v140, v54
	v_sub_f32_e32 v4, v17, v28
	v_dual_sub_f32 v5, v18, v16 :: v_dual_sub_f32 v16, v21, v129
	v_sub_f32_e32 v17, v34, v70
	v_sub_f32_e32 v18, v22, v130
	ds_store_2addr_b64 v225, v[0:1], v[4:5] offset0:60 offset1:70
	v_dual_sub_f32 v1, v7, v25 :: v_dual_sub_f32 v0, v6, v19
	v_dual_sub_f32 v4, v133, v8 :: v_dual_sub_f32 v5, v55, v9
	v_sub_f32_e32 v19, v35, v68
	v_sub_f32_e32 v36, v14, v128
	ds_store_2addr_b64 v225, v[0:1], v[4:5] offset0:80 offset1:90
	v_sub_f32_e32 v0, v14, v20
	v_sub_f32_e32 v1, v128, v32
	s_delay_alu instid0(VALU_DEP_1) | instskip(SKIP_2) | instid1(VALU_DEP_3)
	v_dual_add_f32 v5, v13, v22 :: v_dual_add_f32 v6, v0, v1
	v_sub_f32_e32 v0, v15, v23
	v_sub_f32_e32 v1, v71, v33
	v_dual_add_f32 v4, v12, v21 :: v_dual_add_f32 v5, v5, v35
	s_delay_alu instid0(VALU_DEP_4) | instskip(SKIP_1) | instid1(VALU_DEP_4)
	v_fmac_f32_e32 v31, 0x3e9e377a, v6
	v_fmac_f32_e32 v27, 0x3e9e377a, v6
	v_dual_add_f32 v7, v0, v1 :: v_dual_sub_f32 v0, v21, v34
	v_sub_f32_e32 v1, v129, v70
	v_dual_add_f32 v4, v4, v34 :: v_dual_add_f32 v5, v5, v68
	s_delay_alu instid0(VALU_DEP_2) | instskip(SKIP_1) | instid1(VALU_DEP_3)
	v_add_f32_e32 v8, v0, v1
	v_sub_f32_e32 v0, v22, v35
	v_dual_sub_f32 v1, v130, v68 :: v_dual_add_f32 v4, v4, v70
	s_delay_alu instid0(VALU_DEP_4) | instskip(NEXT) | instid1(VALU_DEP_2)
	v_add_f32_e32 v41, v5, v130
	v_dual_add_f32 v9, v0, v1 :: v_dual_add_f32 v0, v34, v70
	s_delay_alu instid0(VALU_DEP_3) | instskip(NEXT) | instid1(VALU_DEP_2)
	v_add_f32_e32 v40, v4, v129
	v_fma_f32 v10, -0.5, v0, v12
	s_delay_alu instid0(VALU_DEP_1) | instskip(NEXT) | instid1(VALU_DEP_1)
	v_dual_add_f32 v0, v35, v68 :: v_dual_fmamk_f32 v1, v18, 0xbf737871, v10
	v_fma_f32 v11, -0.5, v0, v13
	v_fmac_f32_e32 v10, 0x3f737871, v18
	s_delay_alu instid0(VALU_DEP_3) | instskip(NEXT) | instid1(VALU_DEP_3)
	v_fmac_f32_e32 v1, 0xbf167918, v19
	v_fmamk_f32 v0, v16, 0x3f737871, v11
	v_fmac_f32_e32 v11, 0xbf737871, v16
	s_delay_alu instid0(VALU_DEP_4) | instskip(NEXT) | instid1(VALU_DEP_4)
	v_fmac_f32_e32 v10, 0x3f167918, v19
	v_fmac_f32_e32 v1, 0x3e9e377a, v8
	s_delay_alu instid0(VALU_DEP_4) | instskip(NEXT) | instid1(VALU_DEP_4)
	v_fmac_f32_e32 v0, 0x3f167918, v17
	v_fmac_f32_e32 v11, 0xbf167918, v17
	s_delay_alu instid0(VALU_DEP_4) | instskip(NEXT) | instid1(VALU_DEP_3)
	v_fmac_f32_e32 v10, 0x3e9e377a, v8
	v_fmac_f32_e32 v0, 0x3e9e377a, v9
	s_delay_alu instid0(VALU_DEP_3) | instskip(NEXT) | instid1(VALU_DEP_2)
	v_fmac_f32_e32 v11, 0x3e9e377a, v9
	v_mul_f32_e32 v24, 0xbf167918, v0
	v_dual_mul_f32 v25, 0x3f4f1bbd, v0 :: v_dual_add_f32 v0, v23, v33
	s_delay_alu instid0(VALU_DEP_3) | instskip(NEXT) | instid1(VALU_DEP_3)
	v_mul_f32_e32 v6, 0xbf167918, v11
	v_fmac_f32_e32 v24, 0x3f4f1bbd, v1
	s_delay_alu instid0(VALU_DEP_3) | instskip(NEXT) | instid1(VALU_DEP_4)
	v_fmac_f32_e32 v25, 0x3f167918, v1
	v_fma_f32 v26, -0.5, v0, v3
	v_dual_add_f32 v0, v2, v14 :: v_dual_add_f32 v1, v3, v15
	s_delay_alu instid0(VALU_DEP_4) | instskip(SKIP_1) | instid1(VALU_DEP_4)
	v_add_f32_e32 v4, v31, v24
	v_fmac_f32_e32 v6, 0xbf4f1bbd, v10
	v_fmamk_f32 v38, v36, 0x3f737871, v26
	s_delay_alu instid0(VALU_DEP_4) | instskip(SKIP_1) | instid1(VALU_DEP_3)
	v_dual_add_f32 v0, v0, v20 :: v_dual_add_f32 v1, v1, v23
	v_fmac_f32_e32 v26, 0xbf737871, v36
	v_fmac_f32_e32 v38, 0x3f167918, v37
	s_delay_alu instid0(VALU_DEP_3) | instskip(NEXT) | instid1(VALU_DEP_3)
	v_dual_add_f32 v0, v0, v32 :: v_dual_add_f32 v1, v1, v33
	v_fmac_f32_e32 v26, 0xbf167918, v37
	s_delay_alu instid0(VALU_DEP_3) | instskip(NEXT) | instid1(VALU_DEP_3)
	v_fmac_f32_e32 v38, 0x3e9e377a, v7
	v_dual_add_f32 v28, v0, v128 :: v_dual_add_f32 v39, v1, v71
	s_delay_alu instid0(VALU_DEP_3) | instskip(SKIP_1) | instid1(VALU_DEP_3)
	v_fmac_f32_e32 v26, 0x3e9e377a, v7
	v_mul_f32_e32 v7, 0xbf4f1bbd, v11
	v_dual_add_f32 v5, v38, v25 :: v_dual_add_f32 v0, v28, v40
	s_delay_alu instid0(VALU_DEP_4) | instskip(NEXT) | instid1(VALU_DEP_3)
	v_add_f32_e32 v1, v39, v41
	v_fmac_f32_e32 v7, 0x3f167918, v10
	ds_store_2addr_b64 v223, v[0:1], v[4:5] offset1:10
	v_add_f32_e32 v0, v15, v71
	v_dual_sub_f32 v1, v33, v71 :: v_dual_sub_f32 v4, v34, v21
	v_add_f32_e32 v5, v21, v129
	v_sub_f32_e32 v21, v35, v22
	s_delay_alu instid0(VALU_DEP_4) | instskip(SKIP_3) | instid1(VALU_DEP_4)
	v_dual_fmac_f32 v3, -0.5, v0 :: v_dual_sub_f32 v0, v23, v15
	v_sub_f32_e32 v15, v70, v129
	v_add_f32_e32 v22, v22, v130
	v_dual_fmac_f32 v12, -0.5, v5 :: v_dual_sub_f32 v5, v20, v14
	v_add_f32_e32 v0, v0, v1
	s_delay_alu instid0(VALU_DEP_4) | instskip(NEXT) | instid1(VALU_DEP_4)
	v_add_f32_e32 v1, v4, v15
	v_fmac_f32_e32 v13, -0.5, v22
	v_sub_f32_e32 v15, v32, v128
	v_dual_sub_f32 v23, v68, v130 :: v_dual_fmamk_f32 v20, v19, 0x3f737871, v12
	v_fmac_f32_e32 v12, 0xbf737871, v19
	s_delay_alu instid0(VALU_DEP_3) | instskip(SKIP_1) | instid1(VALU_DEP_4)
	v_dual_add_f32 v14, v14, v128 :: v_dual_add_f32 v5, v5, v15
	v_fmamk_f32 v15, v17, 0xbf737871, v13
	v_dual_fmac_f32 v13, 0x3f737871, v17 :: v_dual_add_f32 v4, v21, v23
	s_delay_alu instid0(VALU_DEP_4) | instskip(NEXT) | instid1(VALU_DEP_4)
	v_fmac_f32_e32 v12, 0x3f167918, v18
	v_fma_f32 v2, -0.5, v14, v2
	s_delay_alu instid0(VALU_DEP_4) | instskip(NEXT) | instid1(VALU_DEP_4)
	v_fmac_f32_e32 v15, 0x3f167918, v16
	v_fmac_f32_e32 v13, 0xbf167918, v16
	v_fmamk_f32 v14, v37, 0xbf737871, v3
	v_fmac_f32_e32 v12, 0x3e9e377a, v1
	v_fmac_f32_e32 v3, 0x3f737871, v37
	;; [unrolled: 1-line block ×7, first 2 shown]
	v_mul_f32_e32 v22, 0xbf737871, v15
	v_mul_f32_e32 v21, 0xbe9e377a, v13
	;; [unrolled: 1-line block ×3, first 2 shown]
	v_dual_fmac_f32 v20, 0x3e9e377a, v1 :: v_dual_mul_f32 v15, 0x3e9e377a, v15
	v_fmac_f32_e32 v3, 0x3e9e377a, v0
	s_delay_alu instid0(VALU_DEP_4) | instskip(NEXT) | instid1(VALU_DEP_4)
	v_fmac_f32_e32 v21, 0x3f737871, v12
	v_fmac_f32_e32 v13, 0xbe9e377a, v12
	v_fmamk_f32 v12, v30, 0x3f737871, v2
	v_fmac_f32_e32 v2, 0xbf737871, v30
	v_fmac_f32_e32 v14, 0x3e9e377a, v0
	;; [unrolled: 1-line block ×6, first 2 shown]
	v_add_f32_e32 v1, v3, v21
	s_delay_alu instid0(VALU_DEP_3) | instskip(NEXT) | instid1(VALU_DEP_3)
	v_fmac_f32_e32 v12, 0x3e9e377a, v5
	v_dual_fmac_f32 v2, 0x3e9e377a, v5 :: v_dual_add_f32 v5, v14, v15
	s_delay_alu instid0(VALU_DEP_2) | instskip(NEXT) | instid1(VALU_DEP_2)
	v_add_f32_e32 v4, v12, v22
	v_add_f32_e32 v0, v2, v13
	ds_store_2addr_b64 v223, v[4:5], v[0:1] offset0:20 offset1:30
	v_dual_sub_f32 v0, v28, v40 :: v_dual_sub_f32 v1, v39, v41
	v_dual_add_f32 v4, v27, v6 :: v_dual_add_f32 v5, v26, v7
	ds_store_2addr_b64 v223, v[4:5], v[0:1] offset0:40 offset1:50
	v_dual_sub_f32 v0, v31, v24 :: v_dual_sub_f32 v1, v38, v25
	v_dual_sub_f32 v4, v12, v22 :: v_dual_sub_f32 v5, v14, v15
	ds_store_2addr_b64 v223, v[0:1], v[4:5] offset0:60 offset1:70
	v_sub_f32_e32 v1, v3, v21
	v_sub_f32_e32 v0, v2, v13
	v_dual_sub_f32 v2, v27, v6 :: v_dual_sub_f32 v3, v26, v7
	ds_store_2addr_b64 v223, v[0:1], v[2:3] offset0:80 offset1:90
	global_wb scope:SCOPE_SE
	s_wait_dscnt 0x0
	s_barrier_signal -1
	s_barrier_wait -1
	global_inv scope:SCOPE_SE
	ds_load_2addr_b64 v[0:3], v175 offset0:48 offset1:168
	ds_load_2addr_b64 v[4:7], v208 offset1:120
	s_wait_dscnt 0x1
	v_mul_f32_e32 v26, v238, v1
	v_mul_f32_e32 v22, v242, v3
	s_delay_alu instid0(VALU_DEP_2) | instskip(SKIP_1) | instid1(VALU_DEP_3)
	v_fmac_f32_e32 v26, v237, v0
	v_mul_f32_e32 v0, v238, v0
	v_fmac_f32_e32 v22, v241, v2
	s_delay_alu instid0(VALU_DEP_2) | instskip(SKIP_1) | instid1(VALU_DEP_1)
	v_fma_f32 v29, v237, v1, -v0
	v_mul_f32_e32 v0, v242, v2
	v_fma_f32 v23, v241, v3, -v0
	ds_load_2addr_b64 v[0:3], v177 offset0:32 offset1:152
	s_wait_dscnt 0x0
	v_mul_f32_e32 v16, v228, v1
	v_mul_f32_e32 v12, v230, v3
	s_delay_alu instid0(VALU_DEP_2) | instskip(SKIP_1) | instid1(VALU_DEP_3)
	v_fmac_f32_e32 v16, v227, v0
	v_mul_f32_e32 v0, v228, v0
	v_fmac_f32_e32 v12, v229, v2
	s_delay_alu instid0(VALU_DEP_2) | instskip(SKIP_1) | instid1(VALU_DEP_1)
	v_fma_f32 v19, v227, v1, -v0
	v_mul_f32_e32 v0, v230, v2
	v_fma_f32 v13, v229, v3, -v0
	ds_load_2addr_b64 v[0:3], v168 offset0:64 offset1:184
	s_wait_dscnt 0x0
	v_dual_mul_f32 v8, v236, v3 :: v_dual_mul_f32 v17, v115, v1
	s_delay_alu instid0(VALU_DEP_1) | instskip(NEXT) | instid1(VALU_DEP_2)
	v_fmac_f32_e32 v8, v235, v2
	v_dual_mul_f32 v2, v236, v2 :: v_dual_fmac_f32 v17, v114, v0
	v_mul_f32_e32 v0, v115, v0
	s_delay_alu instid0(VALU_DEP_2) | instskip(NEXT) | instid1(VALU_DEP_2)
	v_fma_f32 v9, v235, v3, -v2
	v_fma_f32 v18, v114, v1, -v0
	ds_load_2addr_b64 v[0:3], v166 offset0:112 offset1:232
	s_wait_dscnt 0x0
	v_mul_f32_e32 v14, v113, v3
	s_delay_alu instid0(VALU_DEP_1) | instskip(NEXT) | instid1(VALU_DEP_1)
	v_dual_mul_f32 v27, v101, v1 :: v_dual_fmac_f32 v14, v112, v2
	v_dual_mul_f32 v2, v113, v2 :: v_dual_fmac_f32 v27, v100, v0
	v_mul_f32_e32 v0, v101, v0
	s_delay_alu instid0(VALU_DEP_2) | instskip(NEXT) | instid1(VALU_DEP_2)
	v_fma_f32 v15, v112, v3, -v2
	v_fma_f32 v28, v100, v1, -v0
	ds_load_2addr_b64 v[0:3], v201 offset0:80 offset1:200
	s_wait_dscnt 0x0
	v_mul_f32_e32 v30, v103, v3
	s_delay_alu instid0(VALU_DEP_1) | instskip(NEXT) | instid1(VALU_DEP_1)
	v_dual_mul_f32 v39, v75, v1 :: v_dual_fmac_f32 v30, v102, v2
	v_dual_mul_f32 v2, v103, v2 :: v_dual_fmac_f32 v39, v74, v0
	v_mul_f32_e32 v0, v75, v0
	s_delay_alu instid0(VALU_DEP_2) | instskip(NEXT) | instid1(VALU_DEP_2)
	v_fma_f32 v32, v102, v3, -v2
	v_fma_f32 v38, v74, v1, -v0
	ds_load_2addr_b64 v[0:3], v209 offset0:128 offset1:248
	s_wait_dscnt 0x0
	v_mul_f32_e32 v36, v73, v3
	v_mul_f32_e32 v52, v65, v1
	s_delay_alu instid0(VALU_DEP_2) | instskip(SKIP_1) | instid1(VALU_DEP_3)
	v_fmac_f32_e32 v36, v72, v2
	v_mul_f32_e32 v2, v73, v2
	v_fmac_f32_e32 v52, v64, v0
	v_mul_f32_e32 v0, v65, v0
	s_delay_alu instid0(VALU_DEP_3) | instskip(NEXT) | instid1(VALU_DEP_2)
	v_fma_f32 v37, v72, v3, -v2
	v_fma_f32 v53, v64, v1, -v0
	ds_load_2addr_b64 v[0:3], v171 offset0:96 offset1:216
	s_wait_dscnt 0x0
	v_mul_f32_e32 v54, v67, v3
	v_mul_f32_e32 v10, v59, v1
	s_delay_alu instid0(VALU_DEP_2) | instskip(SKIP_1) | instid1(VALU_DEP_3)
	v_fmac_f32_e32 v54, v66, v2
	v_mul_f32_e32 v2, v67, v2
	v_fmac_f32_e32 v10, v58, v0
	v_mul_f32_e32 v0, v59, v0
	s_delay_alu instid0(VALU_DEP_3) | instskip(NEXT) | instid1(VALU_DEP_2)
	;; [unrolled: 12-line block ×3, first 2 shown]
	v_fma_f32 v56, v56, v3, -v2
	v_fma_f32 v25, v94, v1, -v0
	ds_load_2addr_b64 v[0:3], v169 offset0:64 offset1:184
	s_wait_dscnt 0x0
	v_mul_f32_e32 v20, v93, v3
	s_delay_alu instid0(VALU_DEP_1) | instskip(NEXT) | instid1(VALU_DEP_1)
	v_dual_mul_f32 v31, v81, v1 :: v_dual_fmac_f32 v20, v92, v2
	v_dual_mul_f32 v2, v93, v2 :: v_dual_fmac_f32 v31, v80, v0
	v_mul_f32_e32 v0, v81, v0
	s_delay_alu instid0(VALU_DEP_2) | instskip(NEXT) | instid1(VALU_DEP_2)
	v_fma_f32 v21, v92, v3, -v2
	v_fma_f32 v33, v80, v1, -v0
	ds_load_2addr_b64 v[0:3], v165 offset0:32 offset1:152
	s_wait_dscnt 0x0
	v_mul_f32_e32 v34, v83, v3
	v_mul_f32_e32 v42, v63, v1
	s_delay_alu instid0(VALU_DEP_2) | instskip(SKIP_1) | instid1(VALU_DEP_3)
	v_fmac_f32_e32 v34, v82, v2
	v_mul_f32_e32 v2, v83, v2
	v_fmac_f32_e32 v42, v62, v0
	v_mul_f32_e32 v0, v63, v0
	s_delay_alu instid0(VALU_DEP_3) | instskip(NEXT) | instid1(VALU_DEP_2)
	v_fma_f32 v35, v82, v3, -v2
	v_fma_f32 v43, v62, v1, -v0
	ds_load_2addr_b64 v[0:3], v164 offset0:80 offset1:200
	s_wait_dscnt 0x0
	v_mul_f32_e32 v40, v61, v3
	s_delay_alu instid0(VALU_DEP_1) | instskip(NEXT) | instid1(VALU_DEP_1)
	v_dual_mul_f32 v55, v45, v1 :: v_dual_fmac_f32 v40, v60, v2
	v_dual_mul_f32 v2, v61, v2 :: v_dual_fmac_f32 v55, v44, v0
	v_mul_f32_e32 v0, v45, v0
	s_delay_alu instid0(VALU_DEP_2) | instskip(NEXT) | instid1(VALU_DEP_2)
	v_fma_f32 v41, v60, v3, -v2
	v_fma_f32 v44, v44, v1, -v0
	ds_load_2addr_b64 v[0:3], v217 offset0:48 offset1:168
	s_wait_dscnt 0x0
	v_mul_f32_e32 v45, v47, v3
	s_delay_alu instid0(VALU_DEP_1) | instskip(SKIP_2) | instid1(VALU_DEP_2)
	v_fmac_f32_e32 v45, v46, v2
	v_mul_f32_e32 v2, v47, v2
	v_mul_f32_e32 v47, v207, v1
	v_fma_f32 v46, v46, v3, -v2
	s_delay_alu instid0(VALU_DEP_2) | instskip(SKIP_1) | instid1(VALU_DEP_1)
	v_fmac_f32_e32 v47, v206, v0
	v_mul_f32_e32 v0, v207, v0
	v_fma_f32 v57, v206, v1, -v0
	ds_load_2addr_b64 v[0:3], v255 offset0:96 offset1:216
	s_wait_dscnt 0x0
	v_mul_f32_e32 v59, v205, v3
	s_delay_alu instid0(VALU_DEP_1) | instskip(SKIP_1) | instid1(VALU_DEP_2)
	v_fmac_f32_e32 v59, v204, v2
	v_mul_f32_e32 v2, v205, v2
	v_add_f32_e32 v63, v59, v58
	s_delay_alu instid0(VALU_DEP_2) | instskip(SKIP_1) | instid1(VALU_DEP_3)
	v_fma_f32 v60, v204, v3, -v2
	v_dual_add_f32 v3, v5, v57 :: v_dual_add_f32 v2, v4, v47
	v_add_f32_e32 v63, v63, v8
	s_delay_alu instid0(VALU_DEP_2) | instskip(NEXT) | instid1(VALU_DEP_3)
	v_dual_add_f32 v62, v3, v11 :: v_dual_add_f32 v3, v56, v9
	v_add_f32_e32 v61, v2, v10
	v_add_f32_e32 v2, v47, v10
	v_dual_sub_f32 v47, v47, v10 :: v_dual_add_f32 v10, v57, v11
	v_sub_f32_e32 v57, v57, v11
	v_dual_add_f32 v11, v60, v56 :: v_dual_fmac_f32 v60, -0.5, v3
	v_add_f32_e32 v3, v58, v8
	v_sub_f32_e32 v58, v58, v8
	v_sub_f32_e32 v56, v56, v9
	v_fma_f32 v68, -0.5, v2, v4
	v_fma_f32 v69, -0.5, v10, v5
	v_fmac_f32_e32 v59, -0.5, v3
	v_fmamk_f32 v3, v58, 0x3f5db3d7, v60
	v_fmac_f32_e32 v60, 0xbf5db3d7, v58
	v_fmamk_f32 v70, v57, 0xbf5db3d7, v68
	v_fmac_f32_e32 v68, 0x3f5db3d7, v57
	s_delay_alu instid0(VALU_DEP_4)
	v_dual_add_f32 v65, v11, v9 :: v_dual_mul_f32 v66, 0xbf5db3d7, v3
	v_mul_f32_e32 v67, 0.5, v3
	v_fmamk_f32 v3, v56, 0xbf5db3d7, v59
	v_fmamk_f32 v71, v47, 0x3f5db3d7, v69
	v_fmac_f32_e32 v69, 0xbf5db3d7, v47
	v_fmac_f32_e32 v59, 0x3f5db3d7, v56
	s_delay_alu instid0(VALU_DEP_4)
	v_dual_mul_f32 v47, 0xbf5db3d7, v60 :: v_dual_fmac_f32 v66, 0.5, v3
	v_fmac_f32_e32 v67, 0x3f5db3d7, v3
	ds_load_2addr_b64 v[2:5], v167 offset0:112 offset1:232
	global_wb scope:SCOPE_SE
	s_wait_dscnt 0x0
	s_barrier_signal -1
	s_barrier_wait -1
	global_inv scope:SCOPE_SE
	s_clause 0x1
	scratch_load_b32 v74, off, off offset:256 th:TH_LOAD_LU
	scratch_load_b32 v57, off, off offset:248 th:TH_LOAD_LU
	v_mul_f32_e32 v56, -0.5, v60
	v_dual_add_f32 v8, v61, v63 :: v_dual_add_f32 v9, v62, v65
	v_dual_add_f32 v10, v70, v66 :: v_dual_add_f32 v11, v71, v67
	v_fmac_f32_e32 v47, -0.5, v59
	s_delay_alu instid0(VALU_DEP_4)
	v_fmac_f32_e32 v56, 0x3f5db3d7, v59
	scratch_load_b32 v60, off, off offset:284 th:TH_LOAD_LU ; 4-byte Folded Reload
	s_wait_loadcnt 0x2
	ds_store_2addr_b64 v74, v[8:9], v[10:11] offset1:100
	v_dual_sub_f32 v8, v61, v63 :: v_dual_sub_f32 v9, v62, v65
	v_dual_add_f32 v10, v68, v47 :: v_dual_add_f32 v11, v69, v56
	s_wait_loadcnt 0x1
	ds_store_2addr_b64 v57, v[10:11], v[8:9] offset0:72 offset1:172
	v_sub_f32_e32 v10, v68, v47
	scratch_load_b32 v47, off, off offset:252 th:TH_LOAD_LU ; 4-byte Folded Reload
	v_dual_sub_f32 v8, v70, v66 :: v_dual_sub_f32 v9, v71, v67
	v_sub_f32_e32 v11, v69, v56
	s_wait_loadcnt 0x0
	ds_store_2addr_b64 v47, v[8:9], v[10:11] offset0:144 offset1:244
	v_dual_add_f32 v8, v46, v64 :: v_dual_add_f32 v9, v7, v46
	v_dual_add_f32 v10, v44, v53 :: v_dual_add_f32 v11, v55, v52
	v_sub_f32_e32 v46, v46, v64
	s_delay_alu instid0(VALU_DEP_3) | instskip(NEXT) | instid1(VALU_DEP_1)
	v_dual_fmac_f32 v7, -0.5, v8 :: v_dual_add_f32 v8, v6, v45
	v_add_f32_e32 v47, v8, v54
	v_add_f32_e32 v8, v45, v54
	v_sub_f32_e32 v45, v45, v54
	v_add_f32_e32 v54, v9, v64
	v_add_f32_e32 v9, v53, v29
	v_sub_f32_e32 v53, v53, v29
	v_fma_f32 v6, -0.5, v8, v6
	v_add_f32_e32 v29, v10, v29
	s_delay_alu instid0(VALU_DEP_4) | instskip(SKIP_4) | instid1(VALU_DEP_4)
	v_dual_fmamk_f32 v59, v45, 0x3f5db3d7, v7 :: v_dual_fmac_f32 v44, -0.5, v9
	v_add_f32_e32 v9, v52, v26
	v_sub_f32_e32 v52, v52, v26
	v_add_f32_e32 v26, v11, v26
	v_fmamk_f32 v58, v46, 0xbf5db3d7, v6
	v_dual_fmac_f32 v6, 0x3f5db3d7, v46 :: v_dual_fmac_f32 v55, -0.5, v9
	s_delay_alu instid0(VALU_DEP_3) | instskip(SKIP_1) | instid1(VALU_DEP_2)
	v_dual_fmamk_f32 v9, v52, 0x3f5db3d7, v44 :: v_dual_add_f32 v8, v47, v26
	v_dual_fmac_f32 v44, 0xbf5db3d7, v52 :: v_dual_fmac_f32 v7, 0xbf5db3d7, v45
	v_mul_f32_e32 v56, 0xbf5db3d7, v9
	v_mul_f32_e32 v57, 0.5, v9
	v_fmamk_f32 v9, v53, 0xbf5db3d7, v55
	v_fmac_f32_e32 v55, 0x3f5db3d7, v53
	s_delay_alu instid0(VALU_DEP_2) | instskip(NEXT) | instid1(VALU_DEP_4)
	v_fmac_f32_e32 v56, 0.5, v9
	v_fmac_f32_e32 v57, 0x3f5db3d7, v9
	v_add_f32_e32 v9, v54, v29
	s_delay_alu instid0(VALU_DEP_2)
	v_dual_add_f32 v10, v58, v56 :: v_dual_add_f32 v11, v59, v57
	ds_store_2addr_b64 v60, v[8:9], v[10:11] offset1:100
	v_dual_sub_f32 v8, v47, v26 :: v_dual_sub_f32 v9, v54, v29
	v_mul_f32_e32 v26, 0xbf5db3d7, v44
	v_mul_f32_e32 v29, -0.5, v44
	scratch_load_b32 v44, off, off offset:260 th:TH_LOAD_LU ; 4-byte Folded Reload
	v_fmac_f32_e32 v26, -0.5, v55
	s_delay_alu instid0(VALU_DEP_1) | instskip(NEXT) | instid1(VALU_DEP_1)
	v_dual_fmac_f32 v29, 0x3f5db3d7, v55 :: v_dual_add_f32 v10, v6, v26
	v_add_f32_e32 v11, v7, v29
	v_dual_sub_f32 v7, v7, v29 :: v_dual_sub_f32 v6, v6, v26
	v_add_f32_e32 v29, v41, v37
	s_wait_loadcnt 0x0
	ds_store_2addr_b64 v44, v[10:11], v[8:9] offset0:72 offset1:172
	s_clause 0x1
	scratch_load_b32 v10, off, off offset:272 th:TH_LOAD_LU
	scratch_load_b32 v44, off, off offset:292 th:TH_LOAD_LU
	v_dual_sub_f32 v8, v58, v56 :: v_dual_sub_f32 v9, v59, v57
	v_sub_f32_e32 v11, v43, v38
	s_wait_loadcnt 0x1
	ds_store_2addr_b64 v10, v[8:9], v[6:7] offset0:144 offset1:244
	v_add_f32_e32 v6, v2, v42
	v_sub_f32_e32 v9, v42, v39
	v_add_f32_e32 v7, v3, v43
	v_add_f32_e32 v10, v43, v38
	s_delay_alu instid0(VALU_DEP_4) | instskip(SKIP_1) | instid1(VALU_DEP_4)
	v_add_f32_e32 v8, v6, v39
	v_add_f32_e32 v6, v42, v39
	v_dual_add_f32 v26, v7, v38 :: v_dual_add_f32 v7, v37, v23
	v_dual_add_f32 v38, v40, v36 :: v_dual_sub_f32 v37, v37, v23
	s_delay_alu instid0(VALU_DEP_3) | instskip(SKIP_1) | instid1(VALU_DEP_4)
	v_fma_f32 v39, -0.5, v6, v2
	v_add_f32_e32 v23, v29, v23
	v_fmac_f32_e32 v41, -0.5, v7
	v_add_f32_e32 v7, v36, v22
	v_sub_f32_e32 v36, v36, v22
	v_fmamk_f32 v42, v11, 0xbf5db3d7, v39
	v_fmac_f32_e32 v39, 0x3f5db3d7, v11
	scratch_load_b32 v11, off, off offset:280 th:TH_LOAD_LU ; 4-byte Folded Reload
	v_dual_fmac_f32 v40, -0.5, v7 :: v_dual_fmamk_f32 v7, v36, 0x3f5db3d7, v41
	v_add_f32_e32 v22, v38, v22
	v_fma_f32 v10, -0.5, v10, v3
	v_add_f32_e32 v3, v26, v23
	v_fmac_f32_e32 v41, 0xbf5db3d7, v36
	v_mul_f32_e32 v29, 0xbf5db3d7, v7
	v_dual_mul_f32 v38, 0.5, v7 :: v_dual_fmamk_f32 v7, v37, 0xbf5db3d7, v40
	v_dual_fmamk_f32 v43, v9, 0x3f5db3d7, v10 :: v_dual_add_f32 v2, v8, v22
	v_fmac_f32_e32 v10, 0xbf5db3d7, v9
	s_delay_alu instid0(VALU_DEP_3) | instskip(NEXT) | instid1(VALU_DEP_4)
	v_dual_fmac_f32 v40, 0x3f5db3d7, v37 :: v_dual_fmac_f32 v29, 0.5, v7
	v_dual_fmac_f32 v38, 0x3f5db3d7, v7 :: v_dual_mul_f32 v9, -0.5, v41
	s_delay_alu instid0(VALU_DEP_1) | instskip(NEXT) | instid1(VALU_DEP_2)
	v_dual_add_f32 v6, v42, v29 :: v_dual_add_f32 v7, v43, v38
	v_fmac_f32_e32 v9, 0x3f5db3d7, v40
	s_wait_loadcnt 0x1
	ds_store_2addr_b64 v44, v[2:3], v[6:7] offset1:100
	v_sub_f32_e32 v2, v8, v22
	v_dual_mul_f32 v8, 0xbf5db3d7, v41 :: v_dual_sub_f32 v3, v26, v23
	v_add_f32_e32 v7, v10, v9
	v_dual_sub_f32 v23, v28, v19 :: v_dual_sub_f32 v22, v27, v16
	s_delay_alu instid0(VALU_DEP_3) | instskip(NEXT) | instid1(VALU_DEP_1)
	v_fmac_f32_e32 v8, -0.5, v40
	v_add_f32_e32 v6, v39, v8
	s_wait_loadcnt 0x0
	ds_store_2addr_b64 v11, v[6:7], v[2:3] offset0:72 offset1:172
	v_sub_f32_e32 v6, v39, v8
	scratch_load_b32 v8, off, off offset:276 th:TH_LOAD_LU ; 4-byte Folded Reload
	v_dual_sub_f32 v2, v42, v29 :: v_dual_sub_f32 v3, v43, v38
	v_sub_f32_e32 v7, v10, v9
	v_dual_sub_f32 v9, v34, v30 :: v_dual_sub_f32 v10, v35, v32
	s_wait_loadcnt 0x0
	ds_store_2addr_b64 v8, v[2:3], v[6:7] offset0:144 offset1:244
	v_dual_add_f32 v2, v35, v32 :: v_dual_add_f32 v3, v5, v35
	v_dual_add_f32 v6, v33, v28 :: v_dual_add_f32 v7, v31, v27
	s_delay_alu instid0(VALU_DEP_2) | instskip(NEXT) | instid1(VALU_DEP_3)
	v_fmac_f32_e32 v5, -0.5, v2
	v_dual_add_f32 v2, v4, v34 :: v_dual_add_f32 v11, v3, v32
	v_add_f32_e32 v3, v28, v19
	s_delay_alu instid0(VALU_DEP_4) | instskip(NEXT) | instid1(VALU_DEP_3)
	v_add_f32_e32 v19, v6, v19
	v_dual_fmamk_f32 v29, v9, 0x3f5db3d7, v5 :: v_dual_add_f32 v8, v2, v30
	v_add_f32_e32 v2, v34, v30
	scratch_load_b32 v30, off, off offset:288 th:TH_LOAD_LU ; 4-byte Folded Reload
	v_fmac_f32_e32 v33, -0.5, v3
	v_add_f32_e32 v3, v27, v16
	v_add_f32_e32 v16, v7, v16
	v_fma_f32 v4, -0.5, v2, v4
	v_fmac_f32_e32 v5, 0xbf5db3d7, v9
	s_delay_alu instid0(VALU_DEP_4) | instskip(SKIP_1) | instid1(VALU_DEP_4)
	v_fmac_f32_e32 v31, -0.5, v3
	v_fmamk_f32 v3, v22, 0x3f5db3d7, v33
	v_fmamk_f32 v28, v10, 0xbf5db3d7, v4
	v_fmac_f32_e32 v4, 0x3f5db3d7, v10
	scratch_load_b32 v10, off, off offset:268 th:TH_LOAD_LU ; 4-byte Folded Reload
	v_add_f32_e32 v2, v8, v16
	v_mul_f32_e32 v26, 0xbf5db3d7, v3
	v_mul_f32_e32 v27, 0.5, v3
	v_fmamk_f32 v3, v23, 0xbf5db3d7, v31
	v_fmac_f32_e32 v33, 0xbf5db3d7, v22
	v_fmac_f32_e32 v31, 0x3f5db3d7, v23
	s_delay_alu instid0(VALU_DEP_3) | instskip(SKIP_2) | instid1(VALU_DEP_3)
	v_fmac_f32_e32 v26, 0.5, v3
	v_fmac_f32_e32 v27, 0x3f5db3d7, v3
	v_add_f32_e32 v3, v11, v19
	v_dual_mul_f32 v9, -0.5, v33 :: v_dual_add_f32 v6, v28, v26
	s_delay_alu instid0(VALU_DEP_3) | instskip(NEXT) | instid1(VALU_DEP_2)
	v_add_f32_e32 v7, v29, v27
	v_fmac_f32_e32 v9, 0x3f5db3d7, v31
	s_wait_loadcnt 0x1
	ds_store_2addr_b64 v30, v[2:3], v[6:7] offset1:100
	v_sub_f32_e32 v2, v8, v16
	v_dual_mul_f32 v8, 0xbf5db3d7, v33 :: v_dual_sub_f32 v3, v11, v19
	s_delay_alu instid0(VALU_DEP_1) | instskip(NEXT) | instid1(VALU_DEP_1)
	v_dual_add_f32 v7, v5, v9 :: v_dual_fmac_f32 v8, -0.5, v31
	v_add_f32_e32 v6, v4, v8
	s_wait_loadcnt 0x0
	ds_store_2addr_b64 v10, v[6:7], v[2:3] offset0:72 offset1:172
	scratch_load_b32 v6, off, off offset:264 th:TH_LOAD_LU ; 4-byte Folded Reload
	v_dual_sub_f32 v3, v5, v9 :: v_dual_sub_f32 v2, v4, v8
	v_dual_sub_f32 v4, v28, v26 :: v_dual_sub_f32 v5, v29, v27
	v_sub_f32_e32 v8, v25, v18
	v_dual_sub_f32 v10, v14, v12 :: v_dual_sub_f32 v7, v24, v17
	s_wait_loadcnt 0x0
	ds_store_2addr_b64 v6, v[4:5], v[2:3] offset0:144 offset1:244
	v_add_f32_e32 v2, v25, v18
	v_add_f32_e32 v3, v1, v25
	v_dual_add_f32 v4, v21, v15 :: v_dual_add_f32 v5, v20, v14
	s_delay_alu instid0(VALU_DEP_3) | instskip(NEXT) | instid1(VALU_DEP_3)
	v_dual_fmac_f32 v1, -0.5, v2 :: v_dual_add_f32 v2, v0, v24
	v_add_f32_e32 v9, v3, v18
	scratch_load_b32 v18, off, off offset:304 th:TH_LOAD_LU ; 4-byte Folded Reload
	v_add_f32_e32 v3, v15, v13
	v_dual_add_f32 v11, v5, v12 :: v_dual_add_f32 v6, v2, v17
	v_dual_add_f32 v2, v24, v17 :: v_dual_fmamk_f32 v17, v7, 0x3f5db3d7, v1
	s_delay_alu instid0(VALU_DEP_3) | instskip(SKIP_1) | instid1(VALU_DEP_3)
	v_fmac_f32_e32 v21, -0.5, v3
	v_dual_add_f32 v3, v14, v12 :: v_dual_sub_f32 v12, v15, v13
	v_fma_f32 v0, -0.5, v2, v0
	v_dual_add_f32 v13, v4, v13 :: v_dual_add_f32 v2, v6, v11
	s_delay_alu instid0(VALU_DEP_3) | instskip(NEXT) | instid1(VALU_DEP_3)
	v_dual_fmac_f32 v20, -0.5, v3 :: v_dual_fmamk_f32 v3, v10, 0x3f5db3d7, v21
	v_fmamk_f32 v16, v8, 0xbf5db3d7, v0
	v_fmac_f32_e32 v0, 0x3f5db3d7, v8
	scratch_load_b32 v8, off, off offset:300 th:TH_LOAD_LU ; 4-byte Folded Reload
	v_dual_fmac_f32 v21, 0xbf5db3d7, v10 :: v_dual_mul_f32 v14, 0xbf5db3d7, v3
	v_mul_f32_e32 v15, 0.5, v3
	v_fmamk_f32 v3, v12, 0xbf5db3d7, v20
	v_fmac_f32_e32 v1, 0xbf5db3d7, v7
	s_delay_alu instid0(VALU_DEP_4) | instskip(NEXT) | instid1(VALU_DEP_3)
	v_dual_fmac_f32 v20, 0x3f5db3d7, v12 :: v_dual_mul_f32 v7, -0.5, v21
	v_fmac_f32_e32 v14, 0.5, v3
	v_fmac_f32_e32 v15, 0x3f5db3d7, v3
	v_add_f32_e32 v3, v9, v13
	s_delay_alu instid0(VALU_DEP_3) | instskip(NEXT) | instid1(VALU_DEP_3)
	v_dual_fmac_f32 v7, 0x3f5db3d7, v20 :: v_dual_add_f32 v4, v16, v14
	v_add_f32_e32 v5, v17, v15
	s_wait_loadcnt 0x1
	ds_store_2addr_b64 v18, v[2:3], v[4:5] offset1:100
	v_sub_f32_e32 v2, v6, v11
	v_mul_f32_e32 v6, 0xbf5db3d7, v21
	v_sub_f32_e32 v3, v9, v13
	v_add_f32_e32 v5, v1, v7
	s_delay_alu instid0(VALU_DEP_3) | instskip(NEXT) | instid1(VALU_DEP_1)
	v_dual_sub_f32 v1, v1, v7 :: v_dual_fmac_f32 v6, -0.5, v20
	v_add_f32_e32 v4, v0, v6
	v_sub_f32_e32 v0, v0, v6
	s_wait_loadcnt 0x0
	ds_store_2addr_b64 v8, v[4:5], v[2:3] offset0:72 offset1:172
	scratch_load_b32 v4, off, off offset:296 th:TH_LOAD_LU ; 4-byte Folded Reload
	v_dual_sub_f32 v2, v16, v14 :: v_dual_sub_f32 v3, v17, v15
	s_wait_loadcnt 0x0
	ds_store_2addr_b64 v4, v[2:3], v[0:1] offset0:144 offset1:244
	global_wb scope:SCOPE_SE
	s_wait_dscnt 0x0
	s_barrier_signal -1
	s_barrier_wait -1
	global_inv scope:SCOPE_SE
	ds_load_2addr_b64 v[0:3], v175 offset0:48 offset1:168
	s_wait_dscnt 0x0
	v_mul_f32_e32 v24, v240, v1
	s_delay_alu instid0(VALU_DEP_1) | instskip(NEXT) | instid1(VALU_DEP_1)
	v_dual_mul_f32 v13, v200, v3 :: v_dual_fmac_f32 v24, v239, v0
	v_dual_mul_f32 v0, v240, v0 :: v_dual_fmac_f32 v13, v199, v2
	s_delay_alu instid0(VALU_DEP_1) | instskip(SKIP_1) | instid1(VALU_DEP_1)
	v_fma_f32 v25, v239, v1, -v0
	v_mul_f32_e32 v0, v200, v2
	v_fma_f32 v18, v199, v3, -v0
	ds_load_2addr_b64 v[0:3], v177 offset0:32 offset1:152
	s_wait_dscnt 0x0
	v_mul_f32_e32 v16, v211, v1
	v_mul_f32_e32 v10, v196, v3
	s_delay_alu instid0(VALU_DEP_2) | instskip(SKIP_1) | instid1(VALU_DEP_3)
	v_fmac_f32_e32 v16, v210, v0
	v_mul_f32_e32 v0, v211, v0
	v_fmac_f32_e32 v10, v195, v2
	s_delay_alu instid0(VALU_DEP_2) | instskip(SKIP_1) | instid1(VALU_DEP_1)
	v_fma_f32 v19, v210, v1, -v0
	v_mul_f32_e32 v0, v196, v2
	v_fma_f32 v11, v195, v3, -v0
	ds_load_2addr_b64 v[0:3], v168 offset0:64 offset1:184
	s_wait_dscnt 0x0
	v_mul_f32_e32 v6, v198, v3
	v_mul_f32_e32 v12, v127, v1
	s_delay_alu instid0(VALU_DEP_2) | instskip(SKIP_1) | instid1(VALU_DEP_3)
	v_fmac_f32_e32 v6, v197, v2
	v_mul_f32_e32 v2, v198, v2
	v_fmac_f32_e32 v12, v126, v0
	v_mul_f32_e32 v0, v127, v0
	s_delay_alu instid0(VALU_DEP_3) | instskip(NEXT) | instid1(VALU_DEP_2)
	v_fma_f32 v7, v197, v3, -v2
	v_fma_f32 v17, v126, v1, -v0
	ds_load_2addr_b64 v[0:3], v166 offset0:112 offset1:232
	s_wait_dscnt 0x0
	v_mul_f32_e32 v15, v125, v3
	v_mul_f32_e32 v27, v121, v1
	s_delay_alu instid0(VALU_DEP_2) | instskip(NEXT) | instid1(VALU_DEP_2)
	v_fmac_f32_e32 v15, v124, v2
	v_dual_mul_f32 v2, v125, v2 :: v_dual_fmac_f32 v27, v120, v0
	v_mul_f32_e32 v0, v121, v0
	s_delay_alu instid0(VALU_DEP_2) | instskip(NEXT) | instid1(VALU_DEP_2)
	v_fma_f32 v14, v124, v3, -v2
	v_fma_f32 v26, v120, v1, -v0
	ds_load_2addr_b64 v[0:3], v201 offset0:80 offset1:200
	s_wait_dscnt 0x0
	v_mul_f32_e32 v28, v123, v3
	v_mul_f32_e32 v32, v107, v1
	s_delay_alu instid0(VALU_DEP_2) | instskip(SKIP_1) | instid1(VALU_DEP_3)
	v_fmac_f32_e32 v28, v122, v2
	v_mul_f32_e32 v2, v123, v2
	v_fmac_f32_e32 v32, v106, v0
	v_mul_f32_e32 v0, v107, v0
	s_delay_alu instid0(VALU_DEP_3) | instskip(NEXT) | instid1(VALU_DEP_2)
	v_fma_f32 v29, v122, v3, -v2
	v_fma_f32 v33, v106, v1, -v0
	ds_load_2addr_b64 v[0:3], v209 offset0:128 offset1:248
	s_wait_dscnt 0x0
	v_mul_f32_e32 v38, v105, v3
	s_delay_alu instid0(VALU_DEP_1) | instskip(NEXT) | instid1(VALU_DEP_1)
	v_dual_mul_f32 v41, v97, v1 :: v_dual_fmac_f32 v38, v104, v2
	v_dual_mul_f32 v2, v105, v2 :: v_dual_fmac_f32 v41, v96, v0
	v_mul_f32_e32 v0, v97, v0
	s_delay_alu instid0(VALU_DEP_2) | instskip(NEXT) | instid1(VALU_DEP_2)
	v_fma_f32 v39, v104, v3, -v2
	v_fma_f32 v40, v96, v1, -v0
	ds_load_2addr_b64 v[0:3], v171 offset0:96 offset1:216
	s_wait_dscnt 0x0
	v_mul_f32_e32 v44, v99, v3
	v_mul_f32_e32 v8, v91, v1
	s_delay_alu instid0(VALU_DEP_2) | instskip(SKIP_1) | instid1(VALU_DEP_3)
	v_fmac_f32_e32 v44, v98, v2
	v_mul_f32_e32 v2, v99, v2
	v_fmac_f32_e32 v8, v90, v0
	v_mul_f32_e32 v0, v91, v0
	s_delay_alu instid0(VALU_DEP_3) | instskip(NEXT) | instid1(VALU_DEP_2)
	v_fma_f32 v45, v98, v3, -v2
	v_fma_f32 v9, v90, v1, -v0
	ds_load_2addr_b64 v[0:3], v170 offset0:16 offset1:136
	s_wait_dscnt 0x0
	v_mul_f32_e32 v54, v89, v3
	v_mul_f32_e32 v22, v119, v1
	s_delay_alu instid0(VALU_DEP_2) | instskip(SKIP_1) | instid1(VALU_DEP_3)
	v_fmac_f32_e32 v54, v88, v2
	v_mul_f32_e32 v2, v89, v2
	v_fmac_f32_e32 v22, v118, v0
	v_mul_f32_e32 v0, v119, v0
	s_delay_alu instid0(VALU_DEP_3) | instskip(NEXT) | instid1(VALU_DEP_2)
	;; [unrolled: 12-line block ×6, first 2 shown]
	v_fma_f32 v53, v78, v3, -v2
	v_fma_f32 v57, v50, v1, -v0
	ds_load_2addr_b64 v[0:3], v255 offset0:96 offset1:216
	s_wait_dscnt 0x0
	v_mul_f32_e32 v58, v49, v3
	s_delay_alu instid0(VALU_DEP_1) | instskip(SKIP_1) | instid1(VALU_DEP_1)
	v_fmac_f32_e32 v58, v48, v2
	v_mul_f32_e32 v2, v49, v2
	v_fma_f32 v59, v48, v3, -v2
	ds_load_2addr_b64 v[2:5], v208 offset1:120
	s_wait_dscnt 0x0
	v_add_f32_e32 v48, v2, v56
	s_delay_alu instid0(VALU_DEP_1) | instskip(SKIP_1) | instid1(VALU_DEP_1)
	v_add_f32_e32 v50, v48, v8
	v_add_f32_e32 v48, v3, v57
	v_dual_add_f32 v51, v48, v9 :: v_dual_add_f32 v48, v58, v54
	s_delay_alu instid0(VALU_DEP_1) | instskip(SKIP_1) | instid1(VALU_DEP_1)
	v_add_f32_e32 v60, v48, v6
	v_add_f32_e32 v48, v59, v55
	v_dual_add_f32 v61, v48, v7 :: v_dual_add_f32 v48, v50, v60
	v_sub_f32_e32 v50, v50, v60
	v_add_f32_e32 v60, v57, v9
	v_sub_f32_e32 v9, v57, v9
	v_add_f32_e32 v57, v55, v7
	;; [unrolled: 2-line block ×3, first 2 shown]
	v_sub_f32_e32 v51, v51, v61
	v_fma_f32 v60, -0.5, v60, v3
	v_fmac_f32_e32 v59, -0.5, v57
	v_add_f32_e32 v57, v54, v6
	v_sub_f32_e32 v6, v54, v6
	v_add_f32_e32 v54, v56, v8
	v_sub_f32_e32 v8, v56, v8
	s_delay_alu instid0(VALU_DEP_3) | instskip(SKIP_1) | instid1(VALU_DEP_4)
	v_dual_fmac_f32 v58, -0.5, v57 :: v_dual_fmamk_f32 v55, v6, 0x3f5db3d7, v59
	v_fmac_f32_e32 v59, 0xbf5db3d7, v6
	v_fma_f32 v61, -0.5, v54, v2
	s_delay_alu instid0(VALU_DEP_3) | instskip(SKIP_3) | instid1(VALU_DEP_4)
	v_dual_fmamk_f32 v57, v7, 0xbf5db3d7, v58 :: v_dual_mul_f32 v56, 0xbf5db3d7, v55
	v_mul_f32_e32 v55, 0.5, v55
	v_fmac_f32_e32 v58, 0x3f5db3d7, v7
	v_mul_f32_e32 v6, 0xbf5db3d7, v59
	v_dual_mul_f32 v7, -0.5, v59 :: v_dual_fmac_f32 v56, 0.5, v57
	s_delay_alu instid0(VALU_DEP_4)
	v_fmac_f32_e32 v55, 0x3f5db3d7, v57
	v_fmamk_f32 v54, v9, 0xbf5db3d7, v61
	v_fmamk_f32 v57, v8, 0x3f5db3d7, v60
	v_fmac_f32_e32 v61, 0x3f5db3d7, v9
	v_fmac_f32_e32 v60, 0xbf5db3d7, v8
	v_fmac_f32_e32 v6, -0.5, v58
	v_dual_fmac_f32 v7, 0x3f5db3d7, v58 :: v_dual_add_f32 v2, v54, v56
	v_dual_add_f32 v3, v57, v55 :: v_dual_sub_f32 v54, v54, v56
	v_sub_f32_e32 v55, v57, v55
	s_delay_alu instid0(VALU_DEP_3)
	v_dual_add_f32 v56, v61, v6 :: v_dual_add_f32 v57, v60, v7
	v_dual_sub_f32 v58, v61, v6 :: v_dual_sub_f32 v59, v60, v7
	ds_load_2addr_b64 v[6:9], v167 offset0:112 offset1:232
	ds_store_b64 v208, v[2:3] offset:4800
	ds_store_b64 v208, v[56:57] offset:9600
	;; [unrolled: 1-line block ×5, first 2 shown]
	v_add_f32_e32 v2, v4, v52
	s_delay_alu instid0(VALU_DEP_1) | instskip(SKIP_1) | instid1(VALU_DEP_1)
	v_add_f32_e32 v50, v2, v44
	v_add_f32_e32 v2, v5, v53
	;; [unrolled: 1-line block ×4, first 2 shown]
	s_delay_alu instid0(VALU_DEP_1) | instskip(SKIP_1) | instid1(VALU_DEP_1)
	v_add_f32_e32 v54, v2, v24
	v_add_f32_e32 v2, v47, v40
	;; [unrolled: 1-line block ×3, first 2 shown]
	s_delay_alu instid0(VALU_DEP_1)
	v_dual_add_f32 v2, v50, v54 :: v_dual_add_f32 v3, v51, v55
	ds_store_2addr_b64 v208, v[48:49], v[2:3] offset1:120
	v_dual_sub_f32 v2, v50, v54 :: v_dual_sub_f32 v3, v51, v55
	v_dual_add_f32 v50, v43, v39 :: v_dual_add_f32 v51, v42, v38
	ds_store_b64 v208, v[2:3] offset:15360
	v_add_f32_e32 v2, v53, v45
	v_sub_f32_e32 v3, v53, v45
	v_add_f32_e32 v45, v40, v25
	s_delay_alu instid0(VALU_DEP_3) | instskip(NEXT) | instid1(VALU_DEP_2)
	v_dual_fmac_f32 v5, -0.5, v2 :: v_dual_add_f32 v2, v52, v44
	v_fmac_f32_e32 v47, -0.5, v45
	v_add_f32_e32 v45, v41, v24
	v_sub_f32_e32 v24, v41, v24
	v_sub_f32_e32 v44, v52, v44
	v_fma_f32 v4, -0.5, v2, v4
	v_sub_f32_e32 v2, v40, v25
	v_fmac_f32_e32 v46, -0.5, v45
	v_fmamk_f32 v40, v24, 0x3f5db3d7, v47
	v_fmac_f32_e32 v47, 0xbf5db3d7, v24
	v_fmamk_f32 v45, v44, 0x3f5db3d7, v5
	s_delay_alu instid0(VALU_DEP_4) | instskip(SKIP_1) | instid1(VALU_DEP_4)
	v_dual_fmac_f32 v5, 0xbf5db3d7, v44 :: v_dual_fmamk_f32 v44, v2, 0xbf5db3d7, v46
	v_fmac_f32_e32 v46, 0x3f5db3d7, v2
	v_mul_f32_e32 v48, 0xbf5db3d7, v47
	v_dual_mul_f32 v47, -0.5, v47 :: v_dual_add_f32 v2, v36, v32
	v_fmamk_f32 v41, v3, 0xbf5db3d7, v4
	v_fmac_f32_e32 v4, 0x3f5db3d7, v3
	s_delay_alu instid0(VALU_DEP_4) | instskip(NEXT) | instid1(VALU_DEP_4)
	v_fmac_f32_e32 v48, -0.5, v46
	v_fmac_f32_e32 v47, 0x3f5db3d7, v46
	s_wait_dscnt 0x7
	v_fma_f32 v46, -0.5, v2, v6
	v_sub_f32_e32 v2, v37, v33
	s_delay_alu instid0(VALU_DEP_3) | instskip(NEXT) | instid1(VALU_DEP_2)
	v_add_f32_e32 v3, v5, v47
	v_fmamk_f32 v49, v2, 0xbf5db3d7, v46
	v_fmac_f32_e32 v46, 0x3f5db3d7, v2
	v_add_f32_e32 v2, v39, v18
	s_delay_alu instid0(VALU_DEP_1) | instskip(NEXT) | instid1(VALU_DEP_1)
	v_dual_fmac_f32 v43, -0.5, v2 :: v_dual_add_f32 v2, v38, v13
	v_fmac_f32_e32 v42, -0.5, v2
	v_add_f32_e32 v2, v37, v33
	s_delay_alu instid0(VALU_DEP_1) | instskip(SKIP_1) | instid1(VALU_DEP_1)
	v_fma_f32 v52, -0.5, v2, v7
	v_sub_f32_e32 v2, v36, v32
	v_fmamk_f32 v53, v2, 0x3f5db3d7, v52
	v_fmac_f32_e32 v52, 0xbf5db3d7, v2
	v_sub_f32_e32 v2, v38, v13
	s_delay_alu instid0(VALU_DEP_1) | instskip(SKIP_3) | instid1(VALU_DEP_2)
	v_dual_add_f32 v13, v51, v13 :: v_dual_fmamk_f32 v38, v2, 0x3f5db3d7, v43
	v_fmac_f32_e32 v43, 0xbf5db3d7, v2
	v_sub_f32_e32 v2, v39, v18
	v_add_f32_e32 v18, v50, v18
	v_dual_mul_f32 v54, 0xbf5db3d7, v43 :: v_dual_fmamk_f32 v39, v2, 0xbf5db3d7, v42
	v_dual_fmac_f32 v42, 0x3f5db3d7, v2 :: v_dual_mul_f32 v43, -0.5, v43
	v_add_f32_e32 v2, v4, v48
	s_delay_alu instid0(VALU_DEP_2) | instskip(NEXT) | instid1(VALU_DEP_3)
	v_fmac_f32_e32 v54, -0.5, v42
	v_fmac_f32_e32 v43, 0x3f5db3d7, v42
	v_add_nc_u32_e32 v42, 0x2800, v208
	s_delay_alu instid0(VALU_DEP_2) | instskip(SKIP_3) | instid1(VALU_DEP_2)
	v_dual_add_f32 v24, v46, v54 :: v_dual_add_f32 v25, v52, v43
	ds_store_2addr_b64 v42, v[2:3], v[24:25] offset0:40 offset1:160
	v_mul_f32_e32 v42, 0xbf5db3d7, v40
	v_mul_f32_e32 v40, 0.5, v40
	v_fmac_f32_e32 v42, 0.5, v44
	s_delay_alu instid0(VALU_DEP_2) | instskip(SKIP_2) | instid1(VALU_DEP_4)
	v_fmac_f32_e32 v40, 0x3f5db3d7, v44
	v_mul_f32_e32 v44, 0xbf5db3d7, v38
	v_mul_f32_e32 v38, 0.5, v38
	v_sub_f32_e32 v2, v41, v42
	s_delay_alu instid0(VALU_DEP_3) | instskip(NEXT) | instid1(VALU_DEP_3)
	v_dual_sub_f32 v3, v45, v40 :: v_dual_fmac_f32 v44, 0.5, v39
	v_fmac_f32_e32 v38, 0x3f5db3d7, v39
	v_add_nc_u32_e32 v39, 0x4c00, v208
	s_delay_alu instid0(VALU_DEP_3) | instskip(NEXT) | instid1(VALU_DEP_3)
	v_sub_f32_e32 v24, v49, v44
	v_sub_f32_e32 v25, v53, v38
	ds_store_2addr_b64 v39, v[2:3], v[24:25] offset0:88 offset1:208
	v_add_f32_e32 v2, v41, v42
	v_add_f32_e32 v3, v45, v40
	;; [unrolled: 1-line block ×4, first 2 shown]
	ds_store_2addr_b64 v164, v[2:3], v[24:25] offset0:80 offset1:200
	v_dual_sub_f32 v3, v5, v47 :: v_dual_sub_f32 v2, v4, v48
	v_dual_sub_f32 v4, v46, v54 :: v_dual_sub_f32 v5, v52, v43
	ds_store_2addr_b64 v175, v[2:3], v[4:5] offset0:48 offset1:168
	v_add_f32_e32 v2, v6, v36
	s_delay_alu instid0(VALU_DEP_1) | instskip(SKIP_1) | instid1(VALU_DEP_1)
	v_add_f32_e32 v6, v2, v32
	v_add_f32_e32 v2, v7, v37
	v_dual_add_f32 v7, v2, v33 :: v_dual_add_f32 v2, v8, v34
	s_delay_alu instid0(VALU_DEP_1) | instskip(SKIP_1) | instid1(VALU_DEP_1)
	v_dual_add_f32 v3, v7, v18 :: v_dual_add_f32 v24, v2, v28
	v_add_f32_e32 v2, v9, v35
	v_add_f32_e32 v25, v2, v29
	;; [unrolled: 1-line block ×3, first 2 shown]
	s_delay_alu instid0(VALU_DEP_1) | instskip(SKIP_1) | instid1(VALU_DEP_1)
	v_add_f32_e32 v32, v2, v16
	v_add_f32_e32 v2, v31, v26
	v_dual_add_f32 v4, v24, v32 :: v_dual_add_f32 v33, v2, v19
	v_add_f32_e32 v2, v6, v13
	s_delay_alu instid0(VALU_DEP_2)
	v_add_f32_e32 v5, v25, v33
	ds_store_2addr_b64 v167, v[2:3], v[4:5] offset0:112 offset1:232
	v_dual_sub_f32 v2, v6, v13 :: v_dual_sub_f32 v3, v7, v18
	v_add_f32_e32 v6, v35, v29
	v_add_f32_e32 v18, v26, v19
	v_sub_f32_e32 v13, v34, v28
	v_sub_f32_e32 v5, v25, v33
	;; [unrolled: 1-line block ×3, first 2 shown]
	v_dual_fmac_f32 v9, -0.5, v6 :: v_dual_add_f32 v6, v34, v28
	v_dual_fmac_f32 v31, -0.5, v18 :: v_dual_add_f32 v18, v27, v16
	v_sub_f32_e32 v16, v27, v16
	v_sub_f32_e32 v4, v24, v32
	s_delay_alu instid0(VALU_DEP_4)
	v_fma_f32 v8, -0.5, v6, v8
	v_sub_f32_e32 v6, v26, v19
	v_fmac_f32_e32 v30, -0.5, v18
	v_fmamk_f32 v18, v16, 0x3f5db3d7, v31
	v_fmac_f32_e32 v31, 0xbf5db3d7, v16
	v_fmamk_f32 v16, v13, 0x3f5db3d7, v9
	v_fmac_f32_e32 v9, 0xbf5db3d7, v13
	;; [unrolled: 2-line block ×3, first 2 shown]
	v_mul_f32_e32 v19, 0xbf5db3d7, v31
	v_dual_mul_f32 v25, -0.5, v31 :: v_dual_fmamk_f32 v24, v7, 0xbf5db3d7, v8
	s_delay_alu instid0(VALU_DEP_2) | instskip(NEXT) | instid1(VALU_DEP_1)
	v_dual_fmac_f32 v8, 0x3f5db3d7, v7 :: v_dual_fmac_f32 v19, -0.5, v30
	v_dual_fmac_f32 v25, 0x3f5db3d7, v30 :: v_dual_add_f32 v6, v8, v19
	s_delay_alu instid0(VALU_DEP_1)
	v_add_f32_e32 v7, v9, v25
	ds_store_b64 v208, v[6:7] offset:12480
	v_dual_mul_f32 v7, 0.5, v18 :: v_dual_add_nc_u32 v6, 0x3c00, v208
	ds_store_2addr_b64 v6, v[2:3], v[4:5] offset0:120 offset1:240
	v_mul_f32_e32 v6, 0xbf5db3d7, v18
	v_fmac_f32_e32 v7, 0x3f5db3d7, v13
	v_dual_sub_f32 v3, v9, v25 :: v_dual_sub_f32 v2, v8, v19
	s_delay_alu instid0(VALU_DEP_2) | instskip(SKIP_1) | instid1(VALU_DEP_2)
	v_dual_fmac_f32 v6, 0.5, v13 :: v_dual_sub_f32 v5, v16, v7
	v_dual_add_f32 v7, v16, v7 :: v_dual_sub_f32 v16, v23, v17
	v_sub_f32_e32 v4, v24, v6
	ds_store_b64 v208, v[2:3] offset:26880
	ds_store_b64 v208, v[4:5] offset:22080
	v_add_f32_e32 v2, v0, v22
	v_sub_f32_e32 v4, v15, v10
	s_delay_alu instid0(VALU_DEP_2) | instskip(SKIP_1) | instid1(VALU_DEP_1)
	v_dual_add_f32 v6, v24, v6 :: v_dual_add_f32 v5, v2, v12
	v_add_f32_e32 v2, v1, v23
	v_add_f32_e32 v8, v2, v17
	v_add_f32_e32 v2, v20, v15
	s_delay_alu instid0(VALU_DEP_1) | instskip(SKIP_1) | instid1(VALU_DEP_1)
	v_add_f32_e32 v9, v2, v10
	v_add_f32_e32 v2, v21, v14
	v_dual_add_f32 v13, v2, v11 :: v_dual_add_f32 v2, v5, v9
	v_sub_f32_e32 v5, v5, v9
	s_delay_alu instid0(VALU_DEP_2) | instskip(SKIP_2) | instid1(VALU_DEP_1)
	v_add_f32_e32 v3, v8, v13
	ds_store_b64 v208, v[2:3] offset:3840
	v_dual_add_f32 v2, v23, v17 :: v_dual_add_f32 v3, v22, v12
	v_dual_fmac_f32 v1, -0.5, v2 :: v_dual_add_f32 v2, v14, v11
	v_sub_f32_e32 v11, v14, v11
	s_delay_alu instid0(VALU_DEP_3) | instskip(NEXT) | instid1(VALU_DEP_3)
	v_fma_f32 v0, -0.5, v3, v0
	v_fmac_f32_e32 v21, -0.5, v2
	v_add_f32_e32 v2, v15, v10
	s_delay_alu instid0(VALU_DEP_3) | instskip(SKIP_1) | instid1(VALU_DEP_3)
	v_dual_sub_f32 v10, v22, v12 :: v_dual_fmamk_f32 v15, v16, 0xbf5db3d7, v0
	v_fmac_f32_e32 v0, 0x3f5db3d7, v16
	v_fmac_f32_e32 v20, -0.5, v2
	v_fmamk_f32 v2, v4, 0x3f5db3d7, v21
	s_delay_alu instid0(VALU_DEP_4) | instskip(SKIP_2) | instid1(VALU_DEP_4)
	v_fmamk_f32 v17, v10, 0x3f5db3d7, v1
	v_fmac_f32_e32 v21, 0xbf5db3d7, v4
	v_fmac_f32_e32 v1, 0xbf5db3d7, v10
	v_mul_f32_e32 v12, 0xbf5db3d7, v2
	v_mul_f32_e32 v14, 0.5, v2
	v_fmamk_f32 v2, v11, 0xbf5db3d7, v20
	v_fmac_f32_e32 v20, 0x3f5db3d7, v11
	s_delay_alu instid0(VALU_DEP_2) | instskip(NEXT) | instid1(VALU_DEP_4)
	v_fmac_f32_e32 v12, 0.5, v2
	v_fmac_f32_e32 v14, 0x3f5db3d7, v2
	s_delay_alu instid0(VALU_DEP_1) | instskip(SKIP_3) | instid1(VALU_DEP_2)
	v_dual_add_f32 v2, v15, v12 :: v_dual_add_f32 v3, v17, v14
	ds_store_2addr_b64 v169, v[6:7], v[2:3] offset0:64 offset1:184
	v_mul_f32_e32 v3, -0.5, v21
	v_dual_sub_f32 v6, v8, v13 :: v_dual_sub_f32 v7, v15, v12
	v_dual_sub_f32 v8, v17, v14 :: v_dual_fmac_f32 v3, 0x3f5db3d7, v20
	s_delay_alu instid0(VALU_DEP_1) | instskip(SKIP_1) | instid1(VALU_DEP_1)
	v_add_f32_e32 v2, v1, v3
	v_dual_sub_f32 v4, v1, v3 :: v_dual_mul_f32 v3, 0xbf5db3d7, v21
	v_fmac_f32_e32 v3, -0.5, v20
	s_delay_alu instid0(VALU_DEP_1)
	v_add_f32_e32 v1, v0, v3
	v_sub_f32_e32 v3, v0, v3
	ds_store_b64 v208, v[1:2] offset:13440
	ds_store_b64 v208, v[5:6] offset:18240
	;; [unrolled: 1-line block ×4, first 2 shown]
	global_wb scope:SCOPE_SE
	s_wait_dscnt 0x0
	s_barrier_signal -1
	s_barrier_wait -1
	global_inv scope:SCOPE_SE
	scratch_load_b64 v[5:6], off, off offset:236 th:TH_LOAD_LU ; 8-byte Folded Reload
	ds_load_2addr_b64 v[1:4], v208 offset1:120
	scratch_load_b64 v[9:10], off, off offset:188 th:TH_LOAD_LU ; 8-byte Folded Reload
	ds_load_2addr_b64 v[14:17], v165 offset0:32 offset1:152
	scratch_load_b64 v[20:21], off, off offset:172 th:TH_LOAD_LU ; 8-byte Folded Reload
	s_wait_loadcnt_dscnt 0x201
	v_mul_f32_e32 v0, v6, v2
	s_delay_alu instid0(VALU_DEP_1) | instskip(SKIP_1) | instid1(VALU_DEP_1)
	v_fmac_f32_e32 v0, v5, v1
	v_mul_f32_e32 v1, v6, v1
	v_fma_f32 v1, v5, v2, -v1
	scratch_load_b64 v[5:6], off, off offset:204 th:TH_LOAD_LU ; 8-byte Folded Reload
	s_wait_loadcnt 0x0
	v_mul_f32_e32 v2, v6, v4
	s_delay_alu instid0(VALU_DEP_1) | instskip(SKIP_1) | instid1(VALU_DEP_1)
	v_fmac_f32_e32 v2, v5, v3
	v_mul_f32_e32 v3, v6, v3
	v_fma_f32 v4, v5, v4, -v3
	ds_load_2addr_b64 v[5:8], v164 offset0:80 offset1:200
	s_wait_dscnt 0x0
	v_mul_f32_e32 v12, v10, v6
	v_mul_f32_e32 v3, v10, v5
	s_delay_alu instid0(VALU_DEP_2) | instskip(NEXT) | instid1(VALU_DEP_2)
	v_fmac_f32_e32 v12, v9, v5
	v_fma_f32 v13, v9, v6, -v3
	scratch_load_b64 v[9:10], off, off offset:228 th:TH_LOAD_LU ; 8-byte Folded Reload
	s_wait_loadcnt 0x0
	v_mul_f32_e32 v3, v10, v8
	v_mul_f32_e32 v5, v10, v7
	s_delay_alu instid0(VALU_DEP_2) | instskip(NEXT) | instid1(VALU_DEP_2)
	v_fmac_f32_e32 v3, v9, v7
	v_fma_f32 v5, v9, v8, -v5
	scratch_load_b64 v[7:8], off, off offset:180 th:TH_LOAD_LU ; 8-byte Folded Reload
	s_wait_loadcnt 0x0
	;; [unrolled: 7-line block ×3, first 2 shown]
	v_mul_f32_e32 v6, v15, v17
	v_mul_f32_e32 v7, v15, v16
	s_delay_alu instid0(VALU_DEP_2) | instskip(NEXT) | instid1(VALU_DEP_2)
	v_fmac_f32_e32 v6, v14, v16
	v_fma_f32 v7, v14, v17, -v7
	ds_load_2addr_b64 v[16:19], v166 offset0:112 offset1:232
	s_wait_dscnt 0x0
	v_mul_f32_e32 v15, v21, v17
	v_mul_f32_e32 v8, v21, v16
	s_delay_alu instid0(VALU_DEP_2) | instskip(NEXT) | instid1(VALU_DEP_2)
	v_fmac_f32_e32 v15, v20, v16
	v_fma_f32 v16, v20, v17, -v8
	scratch_load_b64 v[20:21], off, off offset:220 th:TH_LOAD_LU ; 8-byte Folded Reload
	s_wait_loadcnt 0x0
	v_mul_f32_e32 v8, v21, v19
	v_mul_f32_e32 v10, v21, v18
	scratch_load_b64 v[21:22], off, off offset:164 th:TH_LOAD_LU ; 8-byte Folded Reload
	v_fmac_f32_e32 v8, v20, v18
	v_fma_f32 v10, v20, v19, -v10
	ds_load_2addr_b64 v[17:20], v168 offset0:64 offset1:184
	s_wait_loadcnt_dscnt 0x0
	v_mul_f32_e32 v26, v22, v18
	v_mul_f32_e32 v14, v22, v17
	s_delay_alu instid0(VALU_DEP_2) | instskip(NEXT) | instid1(VALU_DEP_2)
	v_fmac_f32_e32 v26, v21, v17
	v_fma_f32 v27, v21, v18, -v14
	scratch_load_b64 v[21:22], off, off offset:212 th:TH_LOAD_LU ; 8-byte Folded Reload
	s_wait_loadcnt 0x0
	v_mul_f32_e32 v14, v22, v20
	v_mul_f32_e32 v17, v22, v19
	scratch_load_b64 v[22:23], off, off offset:44 th:TH_LOAD_LU ; 8-byte Folded Reload
	v_fmac_f32_e32 v14, v21, v19
	v_fma_f32 v17, v21, v20, -v17
	ds_load_2addr_b64 v[18:21], v167 offset0:112 offset1:232
	s_wait_loadcnt_dscnt 0x0
	v_mul_f32_e32 v24, v23, v21
	s_delay_alu instid0(VALU_DEP_1) | instskip(SKIP_1) | instid1(VALU_DEP_1)
	v_fmac_f32_e32 v24, v22, v20
	v_mul_f32_e32 v20, v23, v20
	v_fma_f32 v25, v22, v21, -v20
	s_clause 0x1
	scratch_load_b64 v[20:21], off, off offset:196 th:TH_LOAD_LU
	scratch_load_b64 v[22:23], off, off offset:60 th:TH_LOAD_LU
	s_wait_loadcnt 0x1
	v_mul_f32_e32 v28, v21, v19
	s_delay_alu instid0(VALU_DEP_1) | instskip(SKIP_1) | instid1(VALU_DEP_1)
	v_fmac_f32_e32 v28, v20, v18
	v_mul_f32_e32 v18, v21, v18
	v_fma_f32 v29, v20, v19, -v18
	ds_load_2addr_b64 v[18:21], v255 offset0:96 offset1:216
	s_wait_loadcnt_dscnt 0x0
	v_mul_f32_e32 v30, v23, v19
	s_delay_alu instid0(VALU_DEP_1) | instskip(SKIP_1) | instid1(VALU_DEP_1)
	v_fmac_f32_e32 v30, v22, v18
	v_mul_f32_e32 v18, v23, v18
	v_fma_f32 v31, v22, v19, -v18
	scratch_load_b64 v[22:23], off, off offset:140 th:TH_LOAD_LU ; 8-byte Folded Reload
	s_wait_loadcnt 0x0
	v_mul_f32_e32 v32, v23, v21
	v_mul_f32_e32 v18, v23, v20
	s_delay_alu instid0(VALU_DEP_2) | instskip(NEXT) | instid1(VALU_DEP_2)
	v_fmac_f32_e32 v32, v22, v20
	v_fma_f32 v33, v22, v21, -v18
	scratch_load_b64 v[22:23], off, off offset:36 th:TH_LOAD_LU ; 8-byte Folded Reload
	ds_load_2addr_b64 v[18:21], v169 offset0:64 offset1:184
	s_wait_loadcnt_dscnt 0x0
	v_mul_f32_e32 v34, v23, v21
	s_delay_alu instid0(VALU_DEP_1) | instskip(SKIP_1) | instid1(VALU_DEP_1)
	v_fmac_f32_e32 v34, v22, v20
	v_mul_f32_e32 v20, v23, v20
	v_fma_f32 v35, v22, v21, -v20
	s_clause 0x1
	scratch_load_b64 v[20:21], off, off offset:156 th:TH_LOAD_LU
	scratch_load_b64 v[22:23], off, off offset:92 th:TH_LOAD_LU
	s_wait_loadcnt 0x1
	v_mul_f32_e32 v36, v21, v19
	s_delay_alu instid0(VALU_DEP_1) | instskip(SKIP_1) | instid1(VALU_DEP_1)
	v_fmac_f32_e32 v36, v20, v18
	v_mul_f32_e32 v18, v21, v18
	v_fma_f32 v37, v20, v19, -v18
	ds_load_2addr_b64 v[18:21], v217 offset0:48 offset1:168
	s_wait_loadcnt_dscnt 0x0
	v_mul_f32_e32 v38, v23, v19
	s_delay_alu instid0(VALU_DEP_1) | instskip(SKIP_1) | instid1(VALU_DEP_1)
	v_fmac_f32_e32 v38, v22, v18
	v_mul_f32_e32 v18, v23, v18
	v_fma_f32 v39, v22, v19, -v18
	scratch_load_b64 v[22:23], off, off offset:100 th:TH_LOAD_LU ; 8-byte Folded Reload
	s_wait_loadcnt 0x0
	v_mul_f32_e32 v40, v23, v21
	v_mul_f32_e32 v18, v23, v20
	s_delay_alu instid0(VALU_DEP_2) | instskip(NEXT) | instid1(VALU_DEP_2)
	v_fmac_f32_e32 v40, v22, v20
	v_fma_f32 v41, v22, v21, -v18
	scratch_load_b64 v[22:23], off, off offset:28 th:TH_LOAD_LU ; 8-byte Folded Reload
	;; [unrolled: 31-line block ×3, first 2 shown]
	ds_load_2addr_b64 v[18:21], v171 offset0:96 offset1:216
	s_wait_loadcnt_dscnt 0x0
	v_mul_f32_e32 v50, v23, v21
	s_delay_alu instid0(VALU_DEP_1) | instskip(SKIP_1) | instid1(VALU_DEP_1)
	v_fmac_f32_e32 v50, v22, v20
	v_mul_f32_e32 v20, v23, v20
	v_fma_f32 v51, v22, v21, -v20
	s_clause 0x1
	scratch_load_b64 v[20:21], off, off offset:84 th:TH_LOAD_LU
	scratch_load_b64 v[22:23], off, off offset:108 th:TH_LOAD_LU
	s_wait_loadcnt 0x1
	v_mul_f32_e32 v52, v21, v19
	s_delay_alu instid0(VALU_DEP_1) | instskip(SKIP_1) | instid1(VALU_DEP_1)
	v_fmac_f32_e32 v52, v20, v18
	v_mul_f32_e32 v18, v21, v18
	v_fma_f32 v53, v20, v19, -v18
	ds_load_2addr_b64 v[18:21], v201 offset0:80 offset1:200
	s_wait_loadcnt_dscnt 0x0
	v_mul_f32_e32 v54, v23, v19
	s_delay_alu instid0(VALU_DEP_1) | instskip(SKIP_1) | instid1(VALU_DEP_1)
	v_fmac_f32_e32 v54, v22, v18
	v_mul_f32_e32 v18, v23, v18
	v_fma_f32 v55, v22, v19, -v18
	scratch_load_b64 v[18:19], off, off offset:116 th:TH_LOAD_LU ; 8-byte Folded Reload
	s_wait_loadcnt 0x0
	v_mul_f32_e32 v56, v19, v21
	v_dual_mov_b32 v23, v19 :: v_dual_mov_b32 v22, v18
	s_delay_alu instid0(VALU_DEP_2) | instskip(NEXT) | instid1(VALU_DEP_2)
	v_fmac_f32_e32 v56, v18, v20
	v_mul_f32_e32 v18, v23, v20
	s_delay_alu instid0(VALU_DEP_1) | instskip(SKIP_4) | instid1(VALU_DEP_1)
	v_fma_f32 v57, v22, v21, -v18
	scratch_load_b64 v[22:23], off, off offset:12 th:TH_LOAD_LU ; 8-byte Folded Reload
	ds_load_2addr_b64 v[18:21], v175 offset0:48 offset1:168
	s_wait_loadcnt_dscnt 0x0
	v_mul_f32_e32 v58, v23, v21
	v_fmac_f32_e32 v58, v22, v20
	v_mul_f32_e32 v20, v23, v20
	s_delay_alu instid0(VALU_DEP_1)
	v_fma_f32 v59, v22, v21, -v20
	s_clause 0x1
	scratch_load_b64 v[20:21], off, off offset:52 th:TH_LOAD_LU
	scratch_load_b64 v[22:23], off, off offset:68 th:TH_LOAD_LU
	s_wait_loadcnt 0x1
	v_mul_f32_e32 v60, v21, v19
	s_delay_alu instid0(VALU_DEP_1) | instskip(SKIP_1) | instid1(VALU_DEP_1)
	v_fmac_f32_e32 v60, v20, v18
	v_mul_f32_e32 v18, v21, v18
	v_fma_f32 v61, v20, v19, -v18
	ds_load_2addr_b64 v[18:21], v177 offset0:32 offset1:152
	s_wait_loadcnt_dscnt 0x0
	v_mul_f32_e32 v62, v23, v19
	s_delay_alu instid0(VALU_DEP_1) | instskip(SKIP_1) | instid1(VALU_DEP_1)
	v_fmac_f32_e32 v62, v22, v18
	v_mul_f32_e32 v18, v23, v18
	v_fma_f32 v63, v22, v19, -v18
	scratch_load_b64 v[22:23], off, off offset:76 th:TH_LOAD_LU ; 8-byte Folded Reload
	s_wait_loadcnt 0x0
	v_mul_f32_e32 v64, v23, v21
	v_mul_f32_e32 v18, v23, v20
	s_delay_alu instid0(VALU_DEP_2) | instskip(NEXT) | instid1(VALU_DEP_2)
	v_fmac_f32_e32 v64, v22, v20
	v_fma_f32 v65, v22, v21, -v18
	s_clause 0x1
	scratch_load_b64 v[20:21], off, off th:TH_LOAD_LU
	scratch_load_b32 v22, off, off offset:244 th:TH_LOAD_LU
	s_wait_loadcnt 0x1
	v_mad_co_u64_u32 v[18:19], null, s6, v20, 0
	s_mul_i32 s6, s5, 0xffff9e80
	s_wait_alu 0xfffe
	s_sub_co_i32 s6, s6, s4
	s_delay_alu instid0(VALU_DEP_1) | instskip(SKIP_2) | instid1(VALU_DEP_2)
	v_mad_co_u64_u32 v[19:20], null, s7, v20, v[19:20]
	v_cvt_f64_f32_e32 v[20:21], v0
	v_cvt_f64_f32_e32 v[0:1], v1
	v_mul_f64_e32 v[20:21], s[2:3], v[20:21]
	s_delay_alu instid0(VALU_DEP_2) | instskip(NEXT) | instid1(VALU_DEP_2)
	v_mul_f64_e32 v[0:1], s[2:3], v[0:1]
	v_cvt_f32_f64_e32 v20, v[20:21]
	s_delay_alu instid0(VALU_DEP_2) | instskip(SKIP_2) | instid1(VALU_DEP_1)
	v_cvt_f32_f64_e32 v21, v[0:1]
	s_wait_loadcnt 0x0
	v_mad_co_u64_u32 v[0:1], null, s4, v22, 0
	v_mad_co_u64_u32 v[22:23], null, s5, v22, v[1:2]
	s_delay_alu instid0(VALU_DEP_1) | instskip(SKIP_2) | instid1(VALU_DEP_3)
	v_mov_b32_e32 v1, v22
	v_cvt_f64_f32_e32 v[22:23], v24
	v_cvt_f64_f32_e32 v[24:25], v25
	v_lshlrev_b64_e32 v[0:1], 3, v[0:1]
	s_delay_alu instid0(VALU_DEP_3) | instskip(NEXT) | instid1(VALU_DEP_3)
	v_mul_f64_e32 v[22:23], s[2:3], v[22:23]
	v_mul_f64_e32 v[24:25], s[2:3], v[24:25]
	s_delay_alu instid0(VALU_DEP_2) | instskip(NEXT) | instid1(VALU_DEP_2)
	v_cvt_f32_f64_e32 v22, v[22:23]
	v_cvt_f32_f64_e32 v23, v[24:25]
	v_cvt_f64_f32_e32 v[24:25], v12
	v_cvt_f64_f32_e32 v[12:13], v13
	s_delay_alu instid0(VALU_DEP_2) | instskip(NEXT) | instid1(VALU_DEP_2)
	v_mul_f64_e32 v[24:25], s[2:3], v[24:25]
	v_mul_f64_e32 v[12:13], s[2:3], v[12:13]
	s_delay_alu instid0(VALU_DEP_2) | instskip(NEXT) | instid1(VALU_DEP_2)
	v_cvt_f32_f64_e32 v24, v[24:25]
	v_cvt_f32_f64_e32 v25, v[12:13]
	v_lshlrev_b64_e32 v[12:13], 3, v[18:19]
	v_cvt_f64_f32_e32 v[18:19], v35
	s_delay_alu instid0(VALU_DEP_2) | instskip(SKIP_1) | instid1(VALU_DEP_3)
	v_add_co_u32 v66, vcc_lo, s0, v12
	s_wait_alu 0xfffd
	v_add_co_ci_u32_e32 v67, vcc_lo, s1, v13, vcc_lo
	v_cvt_f64_f32_e32 v[12:13], v34
	s_delay_alu instid0(VALU_DEP_3) | instskip(SKIP_1) | instid1(VALU_DEP_3)
	v_add_co_u32 v0, vcc_lo, v66, v0
	s_wait_alu 0xfffd
	v_add_co_ci_u32_e32 v1, vcc_lo, v67, v1, vcc_lo
	s_mul_u64 s[0:1], s[4:5], 0xb40
	v_cvt_f64_f32_e32 v[34:35], v64
	global_store_b64 v[0:1], v[20:21], off
	v_cvt_f64_f32_e32 v[20:21], v11
	s_wait_alu 0xfffe
	v_add_co_u32 v0, vcc_lo, v0, s0
	s_wait_alu 0xfffd
	v_add_co_ci_u32_e32 v1, vcc_lo, s1, v1, vcc_lo
	global_store_b64 v[0:1], v[22:23], off
	v_add_co_u32 v0, vcc_lo, v0, s0
	s_wait_alu 0xfffd
	v_add_co_ci_u32_e32 v1, vcc_lo, s1, v1, vcc_lo
	v_cvt_f64_f32_e32 v[22:23], v51
	global_store_b64 v[0:1], v[24:25], off
	v_add_co_u32 v0, vcc_lo, v0, s0
	v_mul_f64_e32 v[18:19], s[2:3], v[18:19]
	s_wait_alu 0xfffd
	v_add_co_ci_u32_e32 v1, vcc_lo, s1, v1, vcc_lo
	v_cvt_f64_f32_e32 v[24:25], v27
	v_mul_f64_e32 v[12:13], s[2:3], v[12:13]
	v_mul_f64_e32 v[34:35], s[2:3], v[34:35]
	;; [unrolled: 1-line block ×5, first 2 shown]
	v_cvt_f32_f64_e32 v12, v[12:13]
	v_cvt_f32_f64_e32 v13, v[18:19]
	v_cvt_f64_f32_e32 v[18:19], v9
	global_store_b64 v[0:1], v[12:13], off
	v_mul_f64_e32 v[18:19], s[2:3], v[18:19]
	v_cvt_f64_f32_e32 v[11:12], v42
	v_add_co_u32 v0, vcc_lo, v0, s0
	s_wait_alu 0xfffd
	v_add_co_ci_u32_e32 v1, vcc_lo, s1, v1, vcc_lo
	s_delay_alu instid0(VALU_DEP_4)
	v_cvt_f32_f64_e32 v18, v[18:19]
	v_cvt_f32_f64_e32 v19, v[20:21]
	v_cvt_f64_f32_e32 v[20:21], v43
	v_mul_f64_e32 v[11:12], s[2:3], v[11:12]
	global_store_b64 v[0:1], v[18:19], off
	v_mul_f64_e32 v[20:21], s[2:3], v[20:21]
	v_cvt_f32_f64_e32 v11, v[11:12]
	v_add_co_u32 v0, vcc_lo, v0, s0
	s_wait_alu 0xfffd
	v_add_co_ci_u32_e32 v1, vcc_lo, s1, v1, vcc_lo
	v_cvt_f64_f32_e32 v[18:19], v4
	v_cvt_f64_f32_e32 v[4:5], v5
	v_cvt_f32_f64_e32 v12, v[20:21]
	v_cvt_f64_f32_e32 v[20:21], v15
	v_cvt_f64_f32_e32 v[15:16], v16
	v_mul_f64_e32 v[18:19], s[2:3], v[18:19]
	v_mul_f64_e32 v[4:5], s[2:3], v[4:5]
	global_store_b64 v[0:1], v[11:12], off
	v_mul_f64_e32 v[20:21], s[2:3], v[20:21]
	v_mul_f64_e32 v[15:16], s[2:3], v[15:16]
	v_add_co_u32 v0, vcc_lo, v0, s0
	s_wait_alu 0xfffd
	v_add_co_ci_u32_e32 v1, vcc_lo, s1, v1, vcc_lo
	v_cvt_f64_f32_e32 v[11:12], v58
	v_cvt_f32_f64_e32 v20, v[20:21]
	v_cvt_f32_f64_e32 v21, v[15:16]
	v_cvt_f64_f32_e32 v[15:16], v50
	s_delay_alu instid0(VALU_DEP_4)
	v_mul_f64_e32 v[11:12], s[2:3], v[11:12]
	global_store_b64 v[0:1], v[20:21], off
	v_mul_f64_e32 v[15:16], s[2:3], v[15:16]
	v_add_co_u32 v0, vcc_lo, v0, s0
	s_wait_alu 0xfffd
	v_add_co_ci_u32_e32 v1, vcc_lo, s1, v1, vcc_lo
	v_cvt_f32_f64_e32 v11, v[11:12]
	v_cvt_f64_f32_e32 v[20:21], v31
	v_cvt_f32_f64_e32 v15, v[15:16]
	v_cvt_f32_f64_e32 v16, v[22:23]
	v_cvt_f64_f32_e32 v[22:23], v26
	v_cvt_f64_f32_e32 v[26:27], v48
	v_mul_f64_e32 v[20:21], s[2:3], v[20:21]
	global_store_b64 v[0:1], v[15:16], off
	v_cvt_f64_f32_e32 v[15:16], v59
	v_mul_f64_e32 v[22:23], s[2:3], v[22:23]
	v_add_co_u32 v0, vcc_lo, v0, s0
	s_wait_alu 0xfffd
	v_add_co_ci_u32_e32 v1, vcc_lo, s1, v1, vcc_lo
	v_mul_f64_e32 v[26:27], s[2:3], v[26:27]
	v_mul_f64_e32 v[15:16], s[2:3], v[15:16]
	v_cvt_f32_f64_e32 v22, v[22:23]
	v_cvt_f32_f64_e32 v23, v[24:25]
	v_cvt_f64_f32_e32 v[24:25], v44
	v_cvt_f32_f64_e32 v26, v[26:27]
	v_cvt_f32_f64_e32 v12, v[15:16]
	v_cvt_f64_f32_e32 v[15:16], v2
	v_cvt_f64_f32_e32 v[2:3], v3
	global_store_b64 v[0:1], v[22:23], off
	v_add_co_u32 v0, vcc_lo, v0, s0
	s_wait_alu 0xfffd
	v_add_co_ci_u32_e32 v1, vcc_lo, s1, v1, vcc_lo
	v_cvt_f64_f32_e32 v[22:23], v40
	v_mul_f64_e32 v[24:25], s[2:3], v[24:25]
	global_store_b64 v[0:1], v[11:12], off
	v_mul_f64_e32 v[15:16], s[2:3], v[15:16]
	v_mul_f64_e32 v[2:3], s[2:3], v[2:3]
	v_mad_co_u64_u32 v[0:1], null, 0xffff9e80, s4, v[0:1]
	v_cvt_f64_f32_e32 v[11:12], v55
	v_mul_f64_e32 v[22:23], s[2:3], v[22:23]
	v_cvt_f32_f64_e32 v24, v[24:25]
	s_delay_alu instid0(VALU_DEP_4)
	v_add_nc_u32_e32 v1, s6, v1
	v_cvt_f32_f64_e32 v15, v[15:16]
	v_cvt_f32_f64_e32 v16, v[18:19]
	v_cvt_f64_f32_e32 v[18:19], v30
	v_cvt_f32_f64_e32 v2, v[2:3]
	v_cvt_f32_f64_e32 v3, v[4:5]
	v_cvt_f64_f32_e32 v[4:5], v38
	v_cvt_f64_f32_e32 v[30:31], v56
	v_cvt_f32_f64_e32 v22, v[22:23]
	global_store_b64 v[0:1], v[15:16], off
	v_mul_f64_e32 v[18:19], s[2:3], v[18:19]
	v_add_co_u32 v0, vcc_lo, v0, s0
	v_mul_f64_e32 v[4:5], s[2:3], v[4:5]
	s_wait_alu 0xfffd
	v_add_co_ci_u32_e32 v1, vcc_lo, s1, v1, vcc_lo
	v_mul_f64_e32 v[30:31], s[2:3], v[30:31]
	v_cvt_f32_f64_e32 v18, v[18:19]
	v_cvt_f32_f64_e32 v19, v[20:21]
	v_cvt_f64_f32_e32 v[20:21], v39
	v_cvt_f32_f64_e32 v4, v[4:5]
	v_cvt_f32_f64_e32 v30, v[30:31]
	global_store_b64 v[0:1], v[18:19], off
	v_mul_f64_e32 v[20:21], s[2:3], v[20:21]
	v_add_co_u32 v0, vcc_lo, v0, s0
	s_wait_alu 0xfffd
	v_add_co_ci_u32_e32 v1, vcc_lo, s1, v1, vcc_lo
	v_cvt_f64_f32_e32 v[18:19], v32
	global_store_b64 v[0:1], v[2:3], off
	v_add_co_u32 v0, vcc_lo, v0, s0
	s_wait_alu 0xfffd
	v_add_co_ci_u32_e32 v1, vcc_lo, s1, v1, vcc_lo
	v_cvt_f32_f64_e32 v5, v[20:21]
	v_cvt_f64_f32_e32 v[20:21], v6
	v_cvt_f64_f32_e32 v[6:7], v7
	v_mul_f64_e32 v[18:19], s[2:3], v[18:19]
	global_store_b64 v[0:1], v[4:5], off
	scratch_load_b32 v4, off, off offset:8 th:TH_LOAD_LU ; 4-byte Folded Reload
	v_mul_f64_e32 v[20:21], s[2:3], v[20:21]
	v_mul_f64_e32 v[6:7], s[2:3], v[6:7]
	v_add_co_u32 v0, vcc_lo, v0, s0
	s_wait_alu 0xfffd
	v_add_co_ci_u32_e32 v1, vcc_lo, s1, v1, vcc_lo
	v_cvt_f32_f64_e32 v18, v[18:19]
	v_cvt_f32_f64_e32 v20, v[20:21]
	;; [unrolled: 1-line block ×3, first 2 shown]
	v_cvt_f64_f32_e32 v[6:7], v47
	global_store_b64 v[0:1], v[20:21], off
	v_mul_f64_e32 v[6:7], s[2:3], v[6:7]
	v_mad_co_u64_u32 v[0:1], null, 0x1680, s4, v[0:1]
	v_cvt_f64_f32_e32 v[20:21], v36
	s_delay_alu instid0(VALU_DEP_1) | instskip(NEXT) | instid1(VALU_DEP_1)
	v_mul_f64_e32 v[20:21], s[2:3], v[20:21]
	v_cvt_f32_f64_e32 v20, v[20:21]
	s_wait_loadcnt 0x0
	v_mad_co_u64_u32 v[2:3], null, s4, v4, 0
	s_delay_alu instid0(VALU_DEP_1) | instskip(SKIP_1) | instid1(VALU_DEP_2)
	v_mad_co_u64_u32 v[3:4], null, s5, v4, v[3:4]
	v_cvt_f64_f32_e32 v[4:5], v46
	v_lshlrev_b64_e32 v[2:3], 3, v[2:3]
	s_delay_alu instid0(VALU_DEP_1) | instskip(SKIP_1) | instid1(VALU_DEP_2)
	v_add_co_u32 v2, vcc_lo, v66, v2
	s_wait_alu 0xfffd
	v_add_co_ci_u32_e32 v3, vcc_lo, v67, v3, vcc_lo
	s_delay_alu instid0(VALU_DEP_4) | instskip(NEXT) | instid1(VALU_DEP_1)
	v_mul_f64_e32 v[4:5], s[2:3], v[4:5]
	v_cvt_f32_f64_e32 v4, v[4:5]
	v_cvt_f32_f64_e32 v5, v[6:7]
	v_cvt_f64_f32_e32 v[6:7], v8
	v_cvt_f64_f32_e32 v[8:9], v10
	global_store_b64 v[2:3], v[4:5], off
	v_mul_f64_e32 v[6:7], s[2:3], v[6:7]
	v_mul_f64_e32 v[8:9], s[2:3], v[8:9]
	v_cvt_f64_f32_e32 v[4:5], v28
	s_delay_alu instid0(VALU_DEP_3) | instskip(NEXT) | instid1(VALU_DEP_3)
	v_cvt_f32_f64_e32 v6, v[6:7]
	v_cvt_f32_f64_e32 v7, v[8:9]
	v_mad_co_u64_u32 v[8:9], null, 0x1680, s5, v[1:2]
	v_cvt_f64_f32_e32 v[9:10], v54
	v_cvt_f64_f32_e32 v[2:3], v63
	v_mul_f64_e32 v[4:5], s[2:3], v[4:5]
	s_delay_alu instid0(VALU_DEP_4)
	v_mov_b32_e32 v1, v8
	global_store_b64 v[0:1], v[6:7], off
	v_add_co_u32 v0, vcc_lo, v0, s0
	v_mul_f64_e32 v[8:9], s[2:3], v[9:10]
	v_mul_f64_e32 v[10:11], s[2:3], v[11:12]
	v_cvt_f64_f32_e32 v[12:13], v14
	v_cvt_f64_f32_e32 v[14:15], v62
	s_wait_alu 0xfffd
	v_add_co_ci_u32_e32 v1, vcc_lo, s1, v1, vcc_lo
	v_cvt_f64_f32_e32 v[6:7], v33
	v_mul_f64_e32 v[2:3], s[2:3], v[2:3]
	v_cvt_f32_f64_e32 v4, v[4:5]
	v_cvt_f64_f32_e32 v[32:33], v60
	v_cvt_f32_f64_e32 v8, v[8:9]
	v_cvt_f32_f64_e32 v9, v[10:11]
	v_cvt_f64_f32_e32 v[10:11], v17
	v_mul_f64_e32 v[12:13], s[2:3], v[12:13]
	v_cvt_f64_f32_e32 v[16:17], v29
	v_mul_f64_e32 v[14:15], s[2:3], v[14:15]
	v_mul_f64_e32 v[6:7], s[2:3], v[6:7]
	v_cvt_f64_f32_e32 v[28:29], v52
	v_mul_f64_e32 v[32:33], s[2:3], v[32:33]
	global_store_b64 v[0:1], v[8:9], off
	v_mul_f64_e32 v[10:11], s[2:3], v[10:11]
	v_cvt_f32_f64_e32 v12, v[12:13]
	v_cvt_f64_f32_e32 v[8:9], v41
	v_mul_f64_e32 v[16:17], s[2:3], v[16:17]
	v_add_co_u32 v0, vcc_lo, v0, s0
	s_wait_alu 0xfffd
	v_add_co_ci_u32_e32 v1, vcc_lo, s1, v1, vcc_lo
	v_cvt_f32_f64_e32 v14, v[14:15]
	v_cvt_f32_f64_e32 v15, v[2:3]
	v_cvt_f64_f32_e32 v[2:3], v49
	v_cvt_f32_f64_e32 v19, v[6:7]
	v_cvt_f64_f32_e32 v[6:7], v57
	v_mul_f64_e32 v[28:29], s[2:3], v[28:29]
	v_cvt_f32_f64_e32 v13, v[10:11]
	v_cvt_f64_f32_e32 v[10:11], v37
	v_mul_f64_e32 v[8:9], s[2:3], v[8:9]
	;; [unrolled: 3-line block ×3, first 2 shown]
	v_mul_f64_e32 v[6:7], s[2:3], v[6:7]
	v_cvt_f32_f64_e32 v28, v[28:29]
	global_store_b64 v[0:1], v[12:13], off
	v_mul_f64_e32 v[10:11], s[2:3], v[10:11]
	v_cvt_f64_f32_e32 v[12:13], v45
	v_cvt_f32_f64_e32 v23, v[8:9]
	v_cvt_f64_f32_e32 v[8:9], v65
	v_mul_f64_e32 v[16:17], s[2:3], v[16:17]
	v_add_co_u32 v0, vcc_lo, v0, s0
	s_wait_alu 0xfffd
	v_add_co_ci_u32_e32 v1, vcc_lo, s1, v1, vcc_lo
	v_cvt_f32_f64_e32 v27, v[2:3]
	v_cvt_f32_f64_e32 v31, v[6:7]
	;; [unrolled: 1-line block ×3, first 2 shown]
	global_store_b64 v[0:1], v[14:15], off
	v_cvt_f32_f64_e32 v21, v[10:11]
	v_cvt_f64_f32_e32 v[10:11], v61
	v_mul_f64_e32 v[12:13], s[2:3], v[12:13]
	v_mul_f64_e32 v[8:9], s[2:3], v[8:9]
	v_cvt_f32_f64_e32 v29, v[16:17]
	s_delay_alu instid0(VALU_DEP_4) | instskip(NEXT) | instid1(VALU_DEP_4)
	v_mul_f64_e32 v[10:11], s[2:3], v[10:11]
	v_cvt_f32_f64_e32 v25, v[12:13]
	v_mad_co_u64_u32 v[12:13], null, 0xffff9e80, s4, v[0:1]
	s_delay_alu instid0(VALU_DEP_1) | instskip(NEXT) | instid1(VALU_DEP_2)
	v_add_nc_u32_e32 v13, s6, v13
	v_add_co_u32 v2, vcc_lo, v12, s0
	s_wait_alu 0xfffd
	s_delay_alu instid0(VALU_DEP_2) | instskip(NEXT) | instid1(VALU_DEP_2)
	v_add_co_ci_u32_e32 v3, vcc_lo, s1, v13, vcc_lo
	v_add_co_u32 v16, vcc_lo, v2, s0
	global_store_b64 v[12:13], v[4:5], off
	s_wait_alu 0xfffd
	v_add_co_ci_u32_e32 v17, vcc_lo, s1, v3, vcc_lo
	global_store_b64 v[2:3], v[18:19], off
	global_store_b64 v[16:17], v[20:21], off
	v_cvt_f32_f64_e32 v7, v[10:11]
	v_cvt_f32_f64_e32 v10, v[34:35]
	;; [unrolled: 1-line block ×3, first 2 shown]
	v_add_co_u32 v8, vcc_lo, v16, s0
	s_wait_alu 0xfffd
	v_add_co_ci_u32_e32 v9, vcc_lo, s1, v17, vcc_lo
	s_delay_alu instid0(VALU_DEP_2) | instskip(SKIP_1) | instid1(VALU_DEP_2)
	v_add_co_u32 v0, vcc_lo, v8, s0
	s_wait_alu 0xfffd
	v_add_co_ci_u32_e32 v1, vcc_lo, s1, v9, vcc_lo
	global_store_b64 v[8:9], v[22:23], off
	v_add_co_u32 v4, vcc_lo, v0, s0
	s_wait_alu 0xfffd
	v_add_co_ci_u32_e32 v5, vcc_lo, s1, v1, vcc_lo
	global_store_b64 v[0:1], v[24:25], off
	v_add_co_u32 v2, vcc_lo, v4, s0
	s_wait_alu 0xfffd
	v_add_co_ci_u32_e32 v3, vcc_lo, s1, v5, vcc_lo
	s_delay_alu instid0(VALU_DEP_2) | instskip(SKIP_1) | instid1(VALU_DEP_2)
	v_add_co_u32 v12, vcc_lo, v2, s0
	s_wait_alu 0xfffd
	v_add_co_ci_u32_e32 v13, vcc_lo, s1, v3, vcc_lo
	s_delay_alu instid0(VALU_DEP_2) | instskip(SKIP_1) | instid1(VALU_DEP_2)
	;; [unrolled: 4-line block ×3, first 2 shown]
	v_add_co_u32 v0, vcc_lo, v8, s0
	s_wait_alu 0xfffd
	v_add_co_ci_u32_e32 v1, vcc_lo, s1, v9, vcc_lo
	global_store_b64 v[4:5], v[26:27], off
	global_store_b64 v[2:3], v[28:29], off
	global_store_b64 v[12:13], v[30:31], off
	global_store_b64 v[8:9], v[6:7], off
	global_store_b64 v[0:1], v[10:11], off
.LBB0_2:
	s_nop 0
	s_sendmsg sendmsg(MSG_DEALLOC_VGPRS)
	s_endpgm
	.section	.rodata,"a",@progbits
	.p2align	6, 0x0
	.amdhsa_kernel bluestein_single_fwd_len3600_dim1_sp_op_CI_CI
		.amdhsa_group_segment_fixed_size 28800
		.amdhsa_private_segment_fixed_size 320
		.amdhsa_kernarg_size 104
		.amdhsa_user_sgpr_count 2
		.amdhsa_user_sgpr_dispatch_ptr 0
		.amdhsa_user_sgpr_queue_ptr 0
		.amdhsa_user_sgpr_kernarg_segment_ptr 1
		.amdhsa_user_sgpr_dispatch_id 0
		.amdhsa_user_sgpr_private_segment_size 0
		.amdhsa_wavefront_size32 1
		.amdhsa_uses_dynamic_stack 0
		.amdhsa_enable_private_segment 1
		.amdhsa_system_sgpr_workgroup_id_x 1
		.amdhsa_system_sgpr_workgroup_id_y 0
		.amdhsa_system_sgpr_workgroup_id_z 0
		.amdhsa_system_sgpr_workgroup_info 0
		.amdhsa_system_vgpr_workitem_id 0
		.amdhsa_next_free_vgpr 256
		.amdhsa_next_free_sgpr 20
		.amdhsa_reserve_vcc 1
		.amdhsa_float_round_mode_32 0
		.amdhsa_float_round_mode_16_64 0
		.amdhsa_float_denorm_mode_32 3
		.amdhsa_float_denorm_mode_16_64 3
		.amdhsa_fp16_overflow 0
		.amdhsa_workgroup_processor_mode 1
		.amdhsa_memory_ordered 1
		.amdhsa_forward_progress 0
		.amdhsa_round_robin_scheduling 0
		.amdhsa_exception_fp_ieee_invalid_op 0
		.amdhsa_exception_fp_denorm_src 0
		.amdhsa_exception_fp_ieee_div_zero 0
		.amdhsa_exception_fp_ieee_overflow 0
		.amdhsa_exception_fp_ieee_underflow 0
		.amdhsa_exception_fp_ieee_inexact 0
		.amdhsa_exception_int_div_zero 0
	.end_amdhsa_kernel
	.text
.Lfunc_end0:
	.size	bluestein_single_fwd_len3600_dim1_sp_op_CI_CI, .Lfunc_end0-bluestein_single_fwd_len3600_dim1_sp_op_CI_CI
                                        ; -- End function
	.section	.AMDGPU.csdata,"",@progbits
; Kernel info:
; codeLenInByte = 33936
; NumSgprs: 22
; NumVgprs: 256
; ScratchSize: 320
; MemoryBound: 0
; FloatMode: 240
; IeeeMode: 1
; LDSByteSize: 28800 bytes/workgroup (compile time only)
; SGPRBlocks: 2
; VGPRBlocks: 31
; NumSGPRsForWavesPerEU: 22
; NumVGPRsForWavesPerEU: 256
; Occupancy: 4
; WaveLimiterHint : 1
; COMPUTE_PGM_RSRC2:SCRATCH_EN: 1
; COMPUTE_PGM_RSRC2:USER_SGPR: 2
; COMPUTE_PGM_RSRC2:TRAP_HANDLER: 0
; COMPUTE_PGM_RSRC2:TGID_X_EN: 1
; COMPUTE_PGM_RSRC2:TGID_Y_EN: 0
; COMPUTE_PGM_RSRC2:TGID_Z_EN: 0
; COMPUTE_PGM_RSRC2:TIDIG_COMP_CNT: 0
	.text
	.p2alignl 7, 3214868480
	.fill 96, 4, 3214868480
	.type	__hip_cuid_fc7b042ba80bab2d,@object ; @__hip_cuid_fc7b042ba80bab2d
	.section	.bss,"aw",@nobits
	.globl	__hip_cuid_fc7b042ba80bab2d
__hip_cuid_fc7b042ba80bab2d:
	.byte	0                               ; 0x0
	.size	__hip_cuid_fc7b042ba80bab2d, 1

	.ident	"AMD clang version 19.0.0git (https://github.com/RadeonOpenCompute/llvm-project roc-6.4.0 25133 c7fe45cf4b819c5991fe208aaa96edf142730f1d)"
	.section	".note.GNU-stack","",@progbits
	.addrsig
	.addrsig_sym __hip_cuid_fc7b042ba80bab2d
	.amdgpu_metadata
---
amdhsa.kernels:
  - .args:
      - .actual_access:  read_only
        .address_space:  global
        .offset:         0
        .size:           8
        .value_kind:     global_buffer
      - .actual_access:  read_only
        .address_space:  global
        .offset:         8
        .size:           8
        .value_kind:     global_buffer
      - .actual_access:  read_only
        .address_space:  global
        .offset:         16
        .size:           8
        .value_kind:     global_buffer
      - .actual_access:  read_only
        .address_space:  global
        .offset:         24
        .size:           8
        .value_kind:     global_buffer
      - .actual_access:  read_only
        .address_space:  global
        .offset:         32
        .size:           8
        .value_kind:     global_buffer
      - .offset:         40
        .size:           8
        .value_kind:     by_value
      - .address_space:  global
        .offset:         48
        .size:           8
        .value_kind:     global_buffer
      - .address_space:  global
        .offset:         56
        .size:           8
        .value_kind:     global_buffer
      - .address_space:  global
        .offset:         64
        .size:           8
        .value_kind:     global_buffer
      - .address_space:  global
        .offset:         72
        .size:           8
        .value_kind:     global_buffer
      - .offset:         80
        .size:           4
        .value_kind:     by_value
      - .address_space:  global
        .offset:         88
        .size:           8
        .value_kind:     global_buffer
      - .address_space:  global
        .offset:         96
        .size:           8
        .value_kind:     global_buffer
    .group_segment_fixed_size: 28800
    .kernarg_segment_align: 8
    .kernarg_segment_size: 104
    .language:       OpenCL C
    .language_version:
      - 2
      - 0
    .max_flat_workgroup_size: 120
    .name:           bluestein_single_fwd_len3600_dim1_sp_op_CI_CI
    .private_segment_fixed_size: 320
    .sgpr_count:     22
    .sgpr_spill_count: 0
    .symbol:         bluestein_single_fwd_len3600_dim1_sp_op_CI_CI.kd
    .uniform_work_group_size: 1
    .uses_dynamic_stack: false
    .vgpr_count:     256
    .vgpr_spill_count: 79
    .wavefront_size: 32
    .workgroup_processor_mode: 1
amdhsa.target:   amdgcn-amd-amdhsa--gfx1201
amdhsa.version:
  - 1
  - 2
...

	.end_amdgpu_metadata
